;; amdgpu-corpus repo=ROCm/rocFFT kind=compiled arch=gfx906 opt=O3
	.text
	.amdgcn_target "amdgcn-amd-amdhsa--gfx906"
	.amdhsa_code_object_version 6
	.protected	bluestein_single_fwd_len1170_dim1_dp_op_CI_CI ; -- Begin function bluestein_single_fwd_len1170_dim1_dp_op_CI_CI
	.globl	bluestein_single_fwd_len1170_dim1_dp_op_CI_CI
	.p2align	8
	.type	bluestein_single_fwd_len1170_dim1_dp_op_CI_CI,@function
bluestein_single_fwd_len1170_dim1_dp_op_CI_CI: ; @bluestein_single_fwd_len1170_dim1_dp_op_CI_CI
; %bb.0:
	s_load_dwordx4 s[16:19], s[4:5], 0x28
	s_mov_b64 s[54:55], s[2:3]
	v_mul_u32_u24_e32 v1, 0x231, v0
	s_mov_b64 s[52:53], s[0:1]
	v_add_u32_sdwa v4, s6, v1 dst_sel:DWORD dst_unused:UNUSED_PAD src0_sel:DWORD src1_sel:WORD_1
	v_mov_b32_e32 v5, 0
	s_add_u32 s52, s52, s7
	s_waitcnt lgkmcnt(0)
	v_cmp_gt_u64_e32 vcc, s[16:17], v[4:5]
	s_addc_u32 s53, s53, 0
	s_and_saveexec_b64 s[0:1], vcc
	s_cbranch_execz .LBB0_26
; %bb.1:
	s_load_dwordx4 s[0:3], s[4:5], 0x18
	s_load_dwordx4 s[12:15], s[4:5], 0x0
	v_mov_b32_e32 v5, v4
                                        ; implicit-def: $vgpr128_vgpr129
                                        ; implicit-def: $vgpr132_vgpr133
                                        ; implicit-def: $vgpr136_vgpr137
	s_waitcnt lgkmcnt(0)
	s_load_dwordx4 s[8:11], s[0:1], 0x0
	s_movk_i32 s0, 0x75
	v_mul_lo_u16_sdwa v1, v1, s0 dst_sel:DWORD dst_unused:UNUSED_PAD src0_sel:WORD_1 src1_sel:DWORD
	v_sub_u16_e32 v166, v0, v1
	buffer_store_dword v5, off, s[52:55], 0 offset:60 ; 4-byte Folded Spill
	s_nop 0
	buffer_store_dword v6, off, s[52:55], 0 offset:64 ; 4-byte Folded Spill
	s_waitcnt lgkmcnt(0)
	v_mad_u64_u32 v[0:1], s[6:7], s10, v4, 0
	v_mad_u64_u32 v[2:3], s[6:7], s8, v166, 0
	v_lshlrev_b32_e32 v255, 4, v166
	s_mul_i32 s1, s9, 0x2490
	v_mad_u64_u32 v[4:5], s[6:7], s11, v4, v[1:2]
	v_mad_u64_u32 v[5:6], s[6:7], s9, v166, v[3:4]
	v_mov_b32_e32 v1, v4
	v_lshlrev_b64 v[0:1], 4, v[0:1]
	v_mov_b32_e32 v6, s19
	v_mov_b32_e32 v3, v5
	v_add_co_u32_e32 v4, vcc, s18, v0
	v_addc_co_u32_e32 v5, vcc, v6, v1, vcc
	v_lshlrev_b64 v[0:1], 4, v[2:3]
	s_mul_hi_u32 s6, s8, 0x2490
	v_add_co_u32_e32 v8, vcc, v4, v0
	v_addc_co_u32_e32 v9, vcc, v5, v1, vcc
	v_mov_b32_e32 v0, s13
	v_add_co_u32_e32 v40, vcc, s12, v255
	v_addc_co_u32_e32 v41, vcc, 0, v0, vcc
	s_add_i32 s1, s6, s1
	s_mul_i32 s6, s8, 0x2490
	v_mov_b32_e32 v0, s1
	v_add_co_u32_e32 v10, vcc, s6, v8
	v_addc_co_u32_e32 v11, vcc, v9, v0, vcc
	s_movk_i32 s7, 0x2000
	v_add_co_u32_e32 v16, vcc, s7, v40
	s_mul_i32 s7, s9, 0xffffe2c0
	s_mul_hi_u32 s9, s8, 0xffffe2c0
	s_sub_i32 s9, s9, s8
	v_addc_co_u32_e32 v17, vcc, 0, v41, vcc
	s_add_i32 s7, s9, s7
	s_mulk_i32 s8, 0xe2c0
	global_load_dwordx4 v[0:3], v[8:9], off
	global_load_dwordx4 v[4:7], v[10:11], off
	v_mov_b32_e32 v8, s7
	v_add_co_u32_e32 v18, vcc, s8, v10
	v_addc_co_u32_e32 v19, vcc, v11, v8, vcc
	global_load_dwordx4 v[84:87], v255, s[12:13]
	global_load_dwordx4 v[48:51], v255, s[12:13] offset:1872
	v_mov_b32_e32 v8, s1
	v_add_co_u32_e32 v20, vcc, s6, v18
	v_addc_co_u32_e32 v21, vcc, v19, v8, vcc
	global_load_dwordx4 v[8:11], v[18:19], off
	global_load_dwordx4 v[12:15], v[20:21], off
	global_load_dwordx4 v[56:59], v[16:17], off offset:1168
	global_load_dwordx4 v[52:55], v[16:17], off offset:3040
	v_mov_b32_e32 v16, s7
	v_add_co_u32_e32 v20, vcc, s8, v20
	v_addc_co_u32_e32 v21, vcc, v21, v16, vcc
	v_mov_b32_e32 v22, s1
	v_add_co_u32_e32 v24, vcc, s6, v20
	v_addc_co_u32_e32 v25, vcc, v21, v22, vcc
	s_movk_i32 s9, 0x3000
	v_add_co_u32_e32 v32, vcc, s9, v40
	v_addc_co_u32_e32 v33, vcc, 0, v41, vcc
	v_mov_b32_e32 v26, s7
	v_add_co_u32_e32 v28, vcc, s8, v24
	v_addc_co_u32_e32 v29, vcc, v25, v26, vcc
	s_movk_i32 s9, 0x1000
	v_add_co_u32_e32 v36, vcc, s9, v40
	v_addc_co_u32_e32 v37, vcc, 0, v41, vcc
	v_mov_b32_e32 v30, s1
	v_add_co_u32_e32 v34, vcc, s6, v28
	v_addc_co_u32_e32 v35, vcc, v29, v30, vcc
	global_load_dwordx4 v[16:19], v[20:21], off
	global_load_dwordx4 v[60:63], v255, s[12:13] offset:3744
	v_add_co_u32_e32 v38, vcc, s8, v34
	global_load_dwordx4 v[20:23], v[24:25], off
	s_waitcnt vmcnt(8)
	v_mul_f64 v[42:43], v[0:1], v[86:87]
	global_load_dwordx4 v[24:27], v[28:29], off
	s_nop 0
	global_load_dwordx4 v[28:31], v[34:35], off
	global_load_dwordx4 v[72:75], v[32:33], off offset:816
	global_load_dwordx4 v[64:67], v[32:33], off offset:2688
	v_mov_b32_e32 v32, s7
	v_addc_co_u32_e32 v39, vcc, v35, v32, vcc
	global_load_dwordx4 v[32:35], v[38:39], off
	global_load_dwordx4 v[80:83], v[36:37], off offset:1520
	global_load_dwordx4 v[68:71], v[36:37], off offset:3392
	v_mov_b32_e32 v37, s1
	v_add_co_u32_e32 v36, vcc, s6, v38
	v_addc_co_u32_e32 v37, vcc, v39, v37, vcc
	s_movk_i32 s1, 0x4000
	v_add_co_u32_e32 v40, vcc, s1, v40
	v_addc_co_u32_e32 v41, vcc, 0, v41, vcc
	global_load_dwordx4 v[76:79], v[40:41], off offset:464
	v_mul_f64 v[40:41], v[2:3], v[86:87]
	s_waitcnt vmcnt(12)
	v_mul_f64 v[44:45], v[6:7], v[58:59]
	global_load_dwordx4 v[36:39], v[36:37], off
	v_mul_f64 v[46:47], v[4:5], v[58:59]
	v_add_co_u32_e32 v238, vcc, s0, v166
	s_movk_i32 s0, 0xea
	v_add_co_u32_e32 v172, vcc, s0, v166
	v_fma_f64 v[0:1], v[0:1], v[84:85], v[40:41]
	buffer_store_dword v84, off, s[52:55], 0 offset:180 ; 4-byte Folded Spill
	s_nop 0
	buffer_store_dword v85, off, s[52:55], 0 offset:184 ; 4-byte Folded Spill
	buffer_store_dword v86, off, s[52:55], 0 offset:188 ; 4-byte Folded Spill
	;; [unrolled: 1-line block ×3, first 2 shown]
	v_fma_f64 v[4:5], v[4:5], v[56:57], v[44:45]
	buffer_store_dword v56, off, s[52:55], 0 offset:68 ; 4-byte Folded Spill
	s_nop 0
	buffer_store_dword v57, off, s[52:55], 0 offset:72 ; 4-byte Folded Spill
	buffer_store_dword v58, off, s[52:55], 0 offset:76 ; 4-byte Folded Spill
	;; [unrolled: 1-line block ×3, first 2 shown]
	v_mul_f64 v[40:41], v[10:11], v[50:51]
	s_waitcnt vmcnt(20)
	v_mul_f64 v[44:45], v[14:15], v[54:55]
	s_load_dwordx2 s[6:7], s[4:5], 0x38
	s_load_dwordx4 s[8:11], s[2:3], 0x0
	s_movk_i32 s0, 0x15f
	v_fma_f64 v[2:3], v[2:3], v[84:85], -v[42:43]
	v_mul_f64 v[42:43], v[8:9], v[50:51]
	v_fma_f64 v[6:7], v[6:7], v[56:57], -v[46:47]
	ds_write_b128 v255, v[0:3]
	ds_write_b128 v255, v[4:7] offset:9360
	v_fma_f64 v[0:1], v[8:9], v[48:49], v[40:41]
	buffer_store_dword v48, off, s[52:55], 0 offset:28 ; 4-byte Folded Spill
	s_nop 0
	buffer_store_dword v49, off, s[52:55], 0 offset:32 ; 4-byte Folded Spill
	buffer_store_dword v50, off, s[52:55], 0 offset:36 ; 4-byte Folded Spill
	;; [unrolled: 1-line block ×3, first 2 shown]
	v_mul_f64 v[46:47], v[12:13], v[54:55]
	v_fma_f64 v[4:5], v[12:13], v[52:53], v[44:45]
	buffer_store_dword v52, off, s[52:55], 0 offset:44 ; 4-byte Folded Spill
	s_nop 0
	buffer_store_dword v53, off, s[52:55], 0 offset:48 ; 4-byte Folded Spill
	buffer_store_dword v54, off, s[52:55], 0 offset:52 ; 4-byte Folded Spill
	;; [unrolled: 1-line block ×3, first 2 shown]
	s_waitcnt vmcnt(26)
	v_mul_f64 v[8:9], v[18:19], v[62:63]
	s_waitcnt vmcnt(22)
	v_mul_f64 v[12:13], v[22:23], v[74:75]
	v_fma_f64 v[2:3], v[10:11], v[48:49], -v[42:43]
	v_mul_f64 v[10:11], v[16:17], v[62:63]
	v_fma_f64 v[6:7], v[14:15], v[52:53], -v[46:47]
	ds_write_b128 v255, v[0:3] offset:1872
	ds_write_b128 v255, v[4:7] offset:11232
	v_fma_f64 v[0:1], v[16:17], v[60:61], v[8:9]
	buffer_store_dword v60, off, s[52:55], 0 offset:84 ; 4-byte Folded Spill
	s_nop 0
	buffer_store_dword v61, off, s[52:55], 0 offset:88 ; 4-byte Folded Spill
	buffer_store_dword v62, off, s[52:55], 0 offset:92 ; 4-byte Folded Spill
	;; [unrolled: 1-line block ×3, first 2 shown]
	v_mul_f64 v[14:15], v[20:21], v[74:75]
	v_fma_f64 v[4:5], v[20:21], v[72:73], v[12:13]
	buffer_store_dword v72, off, s[52:55], 0 offset:132 ; 4-byte Folded Spill
	s_nop 0
	buffer_store_dword v73, off, s[52:55], 0 offset:136 ; 4-byte Folded Spill
	buffer_store_dword v74, off, s[52:55], 0 offset:140 ; 4-byte Folded Spill
	;; [unrolled: 1-line block ×3, first 2 shown]
	s_waitcnt vmcnt(27)
	v_mul_f64 v[8:9], v[26:27], v[82:83]
	v_mul_f64 v[12:13], v[30:31], v[66:67]
	s_waitcnt vmcnt(26)
	v_mul_f64 v[16:17], v[34:35], v[70:71]
	s_waitcnt vmcnt(24)
	v_mul_f64 v[20:21], v[38:39], v[78:79]
	v_fma_f64 v[8:9], v[24:25], v[80:81], v[8:9]
	v_fma_f64 v[12:13], v[28:29], v[64:65], v[12:13]
	;; [unrolled: 1-line block ×4, first 2 shown]
	v_fma_f64 v[2:3], v[18:19], v[60:61], -v[10:11]
	v_mul_f64 v[10:11], v[24:25], v[82:83]
	buffer_store_dword v80, off, s[52:55], 0 offset:164 ; 4-byte Folded Spill
	s_nop 0
	buffer_store_dword v81, off, s[52:55], 0 offset:168 ; 4-byte Folded Spill
	buffer_store_dword v82, off, s[52:55], 0 offset:172 ; 4-byte Folded Spill
	;; [unrolled: 1-line block ×3, first 2 shown]
	v_fma_f64 v[6:7], v[22:23], v[72:73], -v[14:15]
	v_mul_f64 v[14:15], v[28:29], v[66:67]
	buffer_store_dword v64, off, s[52:55], 0 offset:100 ; 4-byte Folded Spill
	s_nop 0
	buffer_store_dword v65, off, s[52:55], 0 offset:104 ; 4-byte Folded Spill
	buffer_store_dword v66, off, s[52:55], 0 offset:108 ; 4-byte Folded Spill
	buffer_store_dword v67, off, s[52:55], 0 offset:112 ; 4-byte Folded Spill
	v_mul_f64 v[18:19], v[32:33], v[70:71]
	buffer_store_dword v68, off, s[52:55], 0 offset:116 ; 4-byte Folded Spill
	s_nop 0
	buffer_store_dword v69, off, s[52:55], 0 offset:120 ; 4-byte Folded Spill
	buffer_store_dword v70, off, s[52:55], 0 offset:124 ; 4-byte Folded Spill
	buffer_store_dword v71, off, s[52:55], 0 offset:128 ; 4-byte Folded Spill
	;; [unrolled: 6-line block ×3, first 2 shown]
	ds_write_b128 v255, v[0:3] offset:3744
	ds_write_b128 v255, v[4:7] offset:13104
	v_add_co_u32_e32 v37, vcc, s0, v166
	v_lshlrev_b32_e32 v36, 5, v166
	v_fma_f64 v[10:11], v[26:27], v[80:81], -v[10:11]
	v_fma_f64 v[14:15], v[30:31], v[64:65], -v[14:15]
	;; [unrolled: 1-line block ×4, first 2 shown]
	ds_write_b128 v255, v[8:11] offset:5616
	ds_write_b128 v255, v[12:15] offset:14976
	;; [unrolled: 1-line block ×4, first 2 shown]
	s_waitcnt vmcnt(0) lgkmcnt(0)
	s_barrier
	ds_read_b128 v[0:3], v255
	ds_read_b128 v[4:7], v255 offset:9360
	v_addc_co_u32_e64 v8, s[0:1], 0, 0, vcc
	buffer_store_dword v8, off, s[52:55], 0 offset:236 ; 4-byte Folded Spill
	ds_read_b128 v[8:11], v255 offset:1872
	ds_read_b128 v[12:15], v255 offset:7488
	s_waitcnt lgkmcnt(2)
	v_add_f64 v[92:93], v[0:1], -v[4:5]
	v_add_f64 v[94:95], v[2:3], -v[6:7]
	ds_read_b128 v[4:7], v255 offset:11232
	ds_read_b128 v[16:19], v255 offset:13104
	ds_read_b128 v[20:23], v255 offset:3744
	ds_read_b128 v[24:27], v255 offset:5616
	ds_read_b128 v[28:31], v255 offset:14976
	ds_read_b128 v[32:35], v255 offset:16848
	s_waitcnt lgkmcnt(5)
	v_add_f64 v[96:97], v[8:9], -v[4:5]
	v_add_f64 v[98:99], v[10:11], -v[6:7]
	s_waitcnt lgkmcnt(3)
	v_add_f64 v[100:101], v[20:21], -v[16:17]
	v_add_f64 v[102:103], v[22:23], -v[18:19]
	s_waitcnt lgkmcnt(1)
	v_add_f64 v[112:113], v[24:25], -v[28:29]
	v_add_f64 v[114:115], v[26:27], -v[30:31]
	s_waitcnt lgkmcnt(0)
	v_add_f64 v[120:121], v[12:13], -v[32:33]
	v_add_f64 v[122:123], v[14:15], -v[34:35]
	v_fma_f64 v[88:89], v[0:1], 2.0, -v[92:93]
	v_fma_f64 v[90:91], v[2:3], 2.0, -v[94:95]
	;; [unrolled: 1-line block ×10, first 2 shown]
	v_lshlrev_b32_e32 v0, 5, v238
	s_waitcnt vmcnt(0)
	s_barrier
	ds_write_b128 v36, v[88:91]
	ds_write_b128 v36, v[92:95] offset:16
	ds_write_b128 v0, v[104:107]
	buffer_store_dword v0, off, s[52:55], 0 offset:204 ; 4-byte Folded Spill
	ds_write_b128 v0, v[96:99] offset:16
	v_lshlrev_b32_e32 v0, 5, v172
	s_movk_i32 s0, 0x5a
	ds_write_b128 v0, v[108:111]
	buffer_store_dword v0, off, s[52:55], 0 offset:8 ; 4-byte Folded Spill
	ds_write_b128 v0, v[100:103] offset:16
	v_lshlrev_b32_e32 v0, 5, v37
	v_cmp_gt_u16_e64 s[2:3], s0, v166
	buffer_store_dword v37, off, s[52:55], 0 offset:16 ; 4-byte Folded Spill
	ds_write_b128 v0, v[116:119]
	buffer_store_dword v0, off, s[52:55], 0 offset:212 ; 4-byte Folded Spill
	ds_write_b128 v0, v[112:115] offset:16
	ds_write_b128 v36, v[124:127] offset:14976
	buffer_store_dword v36, off, s[52:55], 0 ; 4-byte Folded Spill
	ds_write_b128 v36, v[120:123] offset:14992
	s_waitcnt vmcnt(0) lgkmcnt(0)
	s_barrier
	s_and_saveexec_b64 s[0:1], s[2:3]
	s_cbranch_execz .LBB0_3
; %bb.2:
	ds_read_b128 v[88:91], v255
	ds_read_b128 v[92:95], v255 offset:1440
	ds_read_b128 v[104:107], v255 offset:2880
	;; [unrolled: 1-line block ×12, first 2 shown]
.LBB0_3:
	s_or_b64 exec, exec, s[0:1]
	v_and_b32_e32 v0, 1, v166
	buffer_store_dword v0, off, s[52:55], 0 offset:196 ; 4-byte Folded Spill
	v_mul_u32_u24_e32 v0, 12, v0
	v_lshlrev_b32_e32 v0, 4, v0
	global_load_dwordx4 v[84:87], v0, s[14:15]
	global_load_dwordx4 v[68:71], v0, s[14:15] offset:16
	global_load_dwordx4 v[56:59], v0, s[14:15] offset:32
	;; [unrolled: 1-line block ×11, first 2 shown]
	s_mov_b32 s4, 0x42a4c3d2
	s_mov_b32 s5, 0xbfea55e2
	;; [unrolled: 1-line block ×36, first 2 shown]
	s_waitcnt vmcnt(11) lgkmcnt(11)
	v_mul_f64 v[0:1], v[94:95], v[86:87]
	v_mul_f64 v[2:3], v[92:93], v[86:87]
	s_waitcnt vmcnt(9) lgkmcnt(9)
	v_mul_f64 v[10:11], v[96:97], v[58:59]
	v_mul_f64 v[8:9], v[98:99], v[58:59]
	s_waitcnt vmcnt(7) lgkmcnt(7)
	v_mul_f64 v[16:17], v[102:103], v[78:79]
	s_waitcnt vmcnt(6) lgkmcnt(6)
	;; [unrolled: 2-line block ×4, first 2 shown]
	v_mul_f64 v[32:33], v[138:139], v[42:43]
	s_waitcnt vmcnt(3)
	v_mul_f64 v[34:35], v[124:125], v[62:63]
	s_waitcnt vmcnt(2)
	v_mul_f64 v[36:37], v[132:133], v[54:55]
	v_fma_f64 v[158:159], v[92:93], v[84:85], -v[0:1]
	v_fma_f64 v[148:149], v[98:99], v[56:57], v[10:11]
	v_mul_f64 v[18:19], v[100:101], v[78:79]
	v_mul_f64 v[20:21], v[118:119], v[66:67]
	;; [unrolled: 1-line block ×3, first 2 shown]
	v_fma_f64 v[98:99], v[136:137], v[40:41], -v[32:33]
	v_mul_f64 v[154:155], v[134:135], v[54:55]
	v_fma_f64 v[140:141], v[100:101], v[76:77], -v[16:17]
	v_fma_f64 v[100:101], v[134:135], v[52:53], v[36:37]
	v_fma_f64 v[134:135], v[118:119], v[64:65], v[22:23]
	;; [unrolled: 1-line block ×4, first 2 shown]
	v_mul_f64 v[28:29], v[136:137], v[42:43]
	v_add_f64 v[34:35], v[158:159], -v[98:99]
	v_mul_f64 v[6:7], v[104:105], v[70:71]
	v_fma_f64 v[162:163], v[94:95], v[84:85], v[2:3]
	v_fma_f64 v[146:147], v[96:97], v[56:57], -v[8:9]
	v_mul_f64 v[4:5], v[106:107], v[70:71]
	s_waitcnt vmcnt(0)
	v_mul_f64 v[164:165], v[128:129], v[74:75]
	v_mul_f64 v[14:15], v[108:109], v[46:47]
	v_fma_f64 v[96:97], v[138:139], v[40:41], v[28:29]
	v_mul_f64 v[16:17], v[34:35], s[4:5]
	v_fma_f64 v[156:157], v[106:107], v[68:69], v[6:7]
	v_mul_f64 v[152:153], v[120:121], v[82:83]
	v_mul_f64 v[160:161], v[130:131], v[74:75]
	v_fma_f64 v[150:151], v[104:105], v[68:69], -v[4:5]
	v_fma_f64 v[138:139], v[102:103], v[76:77], v[18:19]
	v_fma_f64 v[102:103], v[132:133], v[52:53], -v[154:155]
	buffer_store_dword v16, off, s[52:55], 0 offset:220 ; 4-byte Folded Spill
	s_nop 0
	buffer_store_dword v17, off, s[52:55], 0 offset:224 ; 4-byte Folded Spill
	v_add_f64 v[94:95], v[162:163], -v[96:97]
	v_fma_f64 v[106:107], v[130:131], v[72:73], v[164:165]
	v_add_f64 v[18:19], v[158:159], v[98:99]
	v_add_f64 v[92:93], v[156:157], -v[100:101]
	v_mul_f64 v[12:13], v[110:111], v[46:47]
	v_mul_f64 v[38:39], v[122:123], v[82:83]
	v_fma_f64 v[144:145], v[110:111], v[44:45], v[14:15]
	v_fma_f64 v[136:137], v[116:117], v[64:65], -v[20:21]
	v_mul_f64 v[170:171], v[94:95], s[18:19]
	v_fma_f64 v[116:117], v[112:113], v[48:49], -v[24:25]
	v_fma_f64 v[110:111], v[122:123], v[80:81], v[152:153]
	v_fma_f64 v[104:105], v[128:129], v[72:73], -v[160:161]
	v_add_f64 v[14:15], v[150:151], v[102:103]
	v_add_f64 v[228:229], v[162:163], v[96:97]
	v_add_f64 v[24:25], v[150:151], -v[102:103]
	v_add_f64 v[247:248], v[148:149], -v[106:107]
	v_mul_f64 v[173:174], v[34:35], s[18:19]
	v_mul_f64 v[177:178], v[92:93], s[4:5]
	v_fma_f64 v[0:1], v[18:19], s[0:1], v[170:171]
	v_mul_f64 v[30:31], v[126:127], v[62:63]
	v_fma_f64 v[142:143], v[108:109], v[44:45], -v[12:13]
	v_fma_f64 v[108:109], v[120:121], v[80:81], -v[38:39]
	v_add_f64 v[220:221], v[156:157], v[100:101]
	v_add_f64 v[206:207], v[146:147], v[104:105]
	v_add_f64 v[22:23], v[146:147], -v[104:105]
	v_add_f64 v[245:246], v[144:145], -v[110:111]
	v_mul_f64 v[185:186], v[24:25], s[4:5]
	v_fma_f64 v[2:3], v[228:229], s[0:1], -v[173:174]
	v_mul_f64 v[181:182], v[247:248], s[34:35]
	v_fma_f64 v[4:5], v[14:15], s[16:17], v[177:178]
	v_add_f64 v[0:1], v[88:89], v[0:1]
	v_fma_f64 v[112:113], v[124:125], v[60:61], -v[30:31]
	v_add_f64 v[208:209], v[148:149], v[106:107]
	v_add_f64 v[194:195], v[142:143], v[108:109]
	v_add_f64 v[230:231], v[142:143], -v[108:109]
	v_add_f64 v[243:244], v[138:139], -v[114:115]
	v_mul_f64 v[189:190], v[22:23], s[34:35]
	v_fma_f64 v[6:7], v[220:221], s[16:17], -v[185:186]
	v_add_f64 v[2:3], v[90:91], v[2:3]
	v_mul_f64 v[179:180], v[245:246], s[26:27]
	v_fma_f64 v[8:9], v[206:207], s[20:21], v[181:182]
	v_add_f64 v[0:1], v[4:5], v[0:1]
	v_add_f64 v[198:199], v[144:145], v[110:111]
	;; [unrolled: 1-line block ×3, first 2 shown]
	v_add_f64 v[226:227], v[140:141], -v[112:113]
	v_mul_f64 v[187:188], v[230:231], s[26:27]
	v_mul_f64 v[175:176], v[243:244], s[36:37]
	v_fma_f64 v[12:13], v[208:209], s[20:21], -v[189:190]
	v_add_f64 v[2:3], v[6:7], v[2:3]
	v_mul_f64 v[196:197], v[94:95], s[4:5]
	v_fma_f64 v[4:5], v[194:195], s[22:23], v[179:180]
	v_add_f64 v[8:9], v[8:9], v[0:1]
	v_add_f64 v[192:193], v[138:139], v[114:115]
	v_add_f64 v[26:27], v[136:137], -v[116:117]
	v_mul_f64 v[183:184], v[226:227], s[36:37]
	v_mul_f64 v[200:201], v[92:93], s[26:27]
	v_fma_f64 v[6:7], v[198:199], s[22:23], -v[187:188]
	v_add_f64 v[2:3], v[12:13], v[2:3]
	v_mul_f64 v[210:211], v[24:25], s[26:27]
	v_fma_f64 v[12:13], v[18:19], s[16:17], v[196:197]
	v_fma_f64 v[20:21], v[10:11], s[24:25], v[175:176]
	v_add_f64 v[4:5], v[4:5], v[8:9]
	v_add_f64 v[32:33], v[134:135], -v[118:119]
	v_add_f64 v[218:219], v[134:135], v[118:119]
	v_mul_f64 v[202:203], v[247:248], s[38:39]
	v_fma_f64 v[28:29], v[192:193], s[24:25], -v[183:184]
	v_add_f64 v[6:7], v[6:7], v[2:3]
	v_fma_f64 v[8:9], v[14:15], s[22:23], v[200:201]
	v_add_f64 v[12:13], v[88:89], v[12:13]
	v_fma_f64 v[30:31], v[220:221], s[22:23], -v[210:211]
	v_mul_f64 v[214:215], v[22:23], s[38:39]
	v_add_f64 v[20:21], v[20:21], v[4:5]
	v_mul_f64 v[3:4], v[26:27], s[38:39]
	v_add_f64 v[212:213], v[136:137], v[116:117]
	;; [unrolled: 2-line block ×3, first 2 shown]
	v_add_f64 v[8:9], v[8:9], v[12:13]
	v_fma_f64 v[12:13], v[206:207], s[28:29], v[202:203]
	v_fma_f64 v[16:17], v[228:229], s[16:17], -v[16:17]
	v_mul_f64 v[204:205], v[245:246], s[40:41]
	v_mul_f64 v[216:217], v[230:231], s[40:41]
	v_fma_f64 v[38:39], v[218:219], s[28:29], -v[3:4]
	v_mul_f64 v[222:223], v[94:95], s[34:35]
	v_fma_f64 v[36:37], v[212:213], s[28:29], v[1:2]
	v_mul_f64 v[224:225], v[92:93], s[38:39]
	v_add_f64 v[8:9], v[12:13], v[8:9]
	v_add_f64 v[16:17], v[90:91], v[16:17]
	v_mul_f64 v[122:123], v[247:248], s[46:47]
	v_fma_f64 v[120:121], v[198:199], s[24:25], -v[216:217]
	v_add_f64 v[154:155], v[38:39], v[6:7]
	v_fma_f64 v[6:7], v[18:19], s[20:21], v[222:223]
	v_add_f64 v[152:153], v[36:37], v[20:21]
	v_mul_f64 v[124:125], v[22:23], s[46:47]
	buffer_store_dword v122, off, s[52:55], 0 offset:244 ; 4-byte Folded Spill
	s_nop 0
	buffer_store_dword v123, off, s[52:55], 0 offset:248 ; 4-byte Folded Spill
	v_add_f64 v[16:17], v[30:31], v[16:17]
	v_fma_f64 v[30:31], v[208:209], s[28:29], -v[214:215]
	buffer_store_dword v124, off, s[52:55], 0 offset:276 ; 4-byte Folded Spill
	s_nop 0
	buffer_store_dword v125, off, s[52:55], 0 offset:280 ; 4-byte Folded Spill
	v_mul_f64 v[128:129], v[230:231], s[42:43]
	v_mul_f64 v[130:131], v[26:27], s[42:43]
	;; [unrolled: 1-line block ×4, first 2 shown]
	v_add_f64 v[12:13], v[30:31], v[16:17]
	v_fma_f64 v[16:17], v[194:195], s[24:25], v[204:205]
	v_mul_f64 v[30:31], v[24:25], s[38:39]
	v_mul_f64 v[232:233], v[226:227], s[44:45]
	;; [unrolled: 1-line block ×5, first 2 shown]
	v_fma_f64 v[20:21], v[228:229], s[20:21], -v[28:29]
	v_add_f64 v[36:37], v[120:121], v[12:13]
	v_add_f64 v[16:17], v[16:17], v[8:9]
	;; [unrolled: 1-line block ×3, first 2 shown]
	v_fma_f64 v[12:13], v[14:15], s[28:29], v[224:225]
	v_fma_f64 v[38:39], v[220:221], s[28:29], -v[30:31]
	v_mul_f64 v[5:6], v[243:244], s[44:45]
	v_fma_f64 v[126:127], v[192:193], s[20:21], -v[232:233]
	v_add_f64 v[20:21], v[90:91], v[20:21]
	v_fma_f64 v[164:165], v[228:229], s[22:23], -v[253:254]
	v_mul_f64 v[236:237], v[245:246], s[34:35]
	v_mul_f64 v[249:250], v[226:227], s[48:49]
	v_add_f64 v[120:121], v[12:13], v[8:9]
	v_mul_f64 v[12:13], v[245:246], s[42:43]
	buffer_store_dword v12, off, s[52:55], 0 offset:260 ; 4-byte Folded Spill
	s_nop 0
	buffer_store_dword v13, off, s[52:55], 0 offset:264 ; 4-byte Folded Spill
	buffer_store_dword v128, off, s[52:55], 0 offset:284 ; 4-byte Folded Spill
	s_nop 0
	buffer_store_dword v129, off, s[52:55], 0 offset:288 ; 4-byte Folded Spill
	;; [unrolled: 3-line block ×4, first 2 shown]
	v_add_f64 v[20:21], v[38:39], v[20:21]
	v_mul_f64 v[7:8], v[32:33], s[42:43]
	v_add_f64 v[126:127], v[126:127], v[36:37]
	v_mul_f64 v[36:37], v[94:95], s[26:27]
	v_mul_f64 v[251:252], v[26:27], s[50:51]
	v_lshrrev_b32_e32 v0, 1, v166
	s_waitcnt vmcnt(0)
	s_barrier
	buffer_store_dword v166, off, s[52:55], 0 offset:24 ; 4-byte Folded Spill
	buffer_store_dword v0, off, s[52:55], 0 offset:200 ; 4-byte Folded Spill
	v_fma_f64 v[160:161], v[18:19], s[22:23], v[36:37]
	v_fma_f64 v[38:39], v[206:207], s[22:23], v[122:123]
	v_fma_f64 v[122:123], v[208:209], s[22:23], -v[124:125]
	v_fma_f64 v[124:125], v[10:11], s[20:21], v[5:6]
	v_add_f64 v[38:39], v[38:39], v[120:121]
	v_add_f64 v[20:21], v[122:123], v[20:21]
	;; [unrolled: 1-line block ×3, first 2 shown]
	v_mul_f64 v[16:17], v[32:33], s[36:37]
	v_fma_f64 v[120:121], v[194:195], s[0:1], v[12:13]
	v_fma_f64 v[122:123], v[198:199], s[0:1], -v[128:129]
	v_mul_f64 v[12:13], v[226:227], s[4:5]
	v_fma_f64 v[130:131], v[218:219], s[0:1], -v[130:131]
	v_fma_f64 v[128:129], v[212:213], s[0:1], v[7:8]
	v_add_f64 v[38:39], v[120:121], v[38:39]
	v_add_f64 v[120:121], v[122:123], v[20:21]
	v_fma_f64 v[122:123], v[10:11], s[16:17], v[132:133]
	v_fma_f64 v[132:133], v[192:193], s[16:17], -v[12:13]
	v_mul_f64 v[20:21], v[26:27], s[36:37]
	v_add_f64 v[126:127], v[130:131], v[126:127]
	v_add_f64 v[124:125], v[128:129], v[124:125]
	;; [unrolled: 1-line block ×4, first 2 shown]
	v_fma_f64 v[122:123], v[212:213], s[24:25], v[16:17]
	v_fma_f64 v[130:131], v[218:219], s[24:25], -v[20:21]
	v_mul_f64 v[132:133], v[24:25], s[40:41]
	v_add_f64 v[128:129], v[122:123], v[38:39]
	v_add_f64 v[130:131], v[130:131], v[120:121]
	;; [unrolled: 1-line block ×3, first 2 shown]
	v_fma_f64 v[120:121], v[14:15], s[24:25], v[234:235]
	v_add_f64 v[122:123], v[90:91], v[164:165]
	v_fma_f64 v[160:161], v[220:221], s[24:25], -v[132:133]
	v_mul_f64 v[164:165], v[22:23], s[42:43]
	v_add_f64 v[38:39], v[120:121], v[38:39]
	v_add_f64 v[120:121], v[160:161], v[122:123]
	v_fma_f64 v[122:123], v[206:207], s[0:1], v[241:242]
	v_mul_f64 v[160:161], v[230:231], s[34:35]
	v_add_f64 v[38:39], v[122:123], v[38:39]
	v_fma_f64 v[122:123], v[208:209], s[0:1], -v[164:165]
	v_add_f64 v[120:121], v[122:123], v[120:121]
	v_fma_f64 v[122:123], v[194:195], s[20:21], v[236:237]
	v_add_f64 v[122:123], v[122:123], v[38:39]
	v_fma_f64 v[38:39], v[198:199], s[20:21], -v[160:161]
	v_add_f64 v[120:121], v[38:39], v[120:121]
	v_mul_f64 v[38:39], v[243:244], s[48:49]
	v_fma_f64 v[239:240], v[10:11], s[28:29], v[38:39]
	v_add_f64 v[122:123], v[239:240], v[122:123]
	v_fma_f64 v[239:240], v[192:193], s[28:29], -v[249:250]
	v_add_f64 v[168:169], v[239:240], v[120:121]
	v_mul_f64 v[239:240], v[32:33], s[50:51]
	v_fma_f64 v[120:121], v[212:213], s[16:17], v[239:240]
	v_add_f64 v[120:121], v[120:121], v[122:123]
	v_fma_f64 v[122:123], v[218:219], s[16:17], -v[251:252]
	v_add_f64 v[122:123], v[122:123], v[168:169]
	s_and_saveexec_b64 s[30:31], s[2:3]
	s_cbranch_execz .LBB0_5
; %bb.4:
	v_mul_f64 v[168:169], v[228:229], s[28:29]
	v_mul_f64 v[166:167], v[94:95], s[38:39]
	buffer_store_dword v170, off, s[52:55], 0 offset:308 ; 4-byte Folded Spill
	s_nop 0
	buffer_store_dword v171, off, s[52:55], 0 offset:312 ; 4-byte Folded Spill
	buffer_store_dword v173, off, s[52:55], 0 offset:332 ; 4-byte Folded Spill
	s_nop 0
	buffer_store_dword v174, off, s[52:55], 0 offset:336 ; 4-byte Folded Spill
	;; [unrolled: 3-line block ×4, first 2 shown]
	v_mul_f64 v[170:171], v[220:221], s[0:1]
	v_mul_f64 v[175:176], v[92:93], s[42:43]
	v_fma_f64 v[173:174], v[34:35], s[48:49], v[168:169]
	v_fma_f64 v[177:178], v[18:19], s[28:29], v[166:167]
	v_fma_f64 v[168:169], v[34:35], s[38:39], v[168:169]
	buffer_store_dword v179, off, s[52:55], 0 offset:300 ; 4-byte Folded Spill
	s_nop 0
	buffer_store_dword v180, off, s[52:55], 0 offset:304 ; 4-byte Folded Spill
	buffer_store_dword v181, off, s[52:55], 0 offset:356 ; 4-byte Folded Spill
	s_nop 0
	buffer_store_dword v182, off, s[52:55], 0 offset:360 ; 4-byte Folded Spill
	;; [unrolled: 3-line block ×5, first 2 shown]
	v_mul_f64 v[179:180], v[208:209], s[24:25]
	v_mul_f64 v[181:182], v[247:248], s[36:37]
	v_fma_f64 v[185:186], v[24:25], s[18:19], v[170:171]
	v_add_f64 v[173:174], v[90:91], v[173:174]
	v_fma_f64 v[187:188], v[14:15], s[0:1], v[175:176]
	v_add_f64 v[177:178], v[88:89], v[177:178]
	;; [unrolled: 2-line block ×3, first 2 shown]
	buffer_store_dword v189, off, s[52:55], 0 offset:380 ; 4-byte Folded Spill
	s_nop 0
	buffer_store_dword v190, off, s[52:55], 0 offset:384 ; 4-byte Folded Spill
	buffer_store_dword v1, off, s[52:55], 0 offset:348 ; 4-byte Folded Spill
	s_nop 0
	buffer_store_dword v2, off, s[52:55], 0 offset:352 ; 4-byte Folded Spill
	;; [unrolled: 3-line block ×3, first 2 shown]
	v_mul_f64 v[183:184], v[198:199], s[16:17]
	v_mul_f64 v[0:1], v[245:246], s[50:51]
	v_fma_f64 v[2:3], v[22:23], s[40:41], v[179:180]
	v_add_f64 v[173:174], v[185:186], v[173:174]
	v_fma_f64 v[185:186], v[206:207], s[24:25], v[181:182]
	v_add_f64 v[177:178], v[187:188], v[177:178]
	;; [unrolled: 2-line block ×3, first 2 shown]
	v_mul_f64 v[189:190], v[192:193], s[22:23]
	v_mul_f64 v[170:171], v[243:244], s[26:27]
	v_fma_f64 v[166:167], v[18:19], s[28:29], -v[166:167]
	v_add_f64 v[2:3], v[2:3], v[173:174]
	v_fma_f64 v[173:174], v[230:231], s[4:5], v[183:184]
	v_add_f64 v[177:178], v[185:186], v[177:178]
	v_fma_f64 v[185:186], v[194:195], s[16:17], v[0:1]
	;; [unrolled: 2-line block ×3, first 2 shown]
	buffer_store_dword v5, off, s[52:55], 0 offset:388 ; 4-byte Folded Spill
	s_nop 0
	buffer_store_dword v6, off, s[52:55], 0 offset:392 ; 4-byte Folded Spill
	buffer_store_dword v7, off, s[52:55], 0 offset:396 ; 4-byte Folded Spill
	s_nop 0
	buffer_store_dword v8, off, s[52:55], 0 offset:400 ; 4-byte Folded Spill
	v_mul_f64 v[187:188], v[218:219], s[20:21]
	v_mul_f64 v[4:5], v[32:33], s[44:45]
	;; [unrolled: 1-line block ×4, first 2 shown]
	v_add_f64 v[2:3], v[173:174], v[2:3]
	v_fma_f64 v[94:95], v[226:227], s[46:47], v[189:190]
	v_add_f64 v[173:174], v[185:186], v[177:178]
	v_fma_f64 v[177:178], v[10:11], s[22:23], v[170:171]
	v_fma_f64 v[175:176], v[14:15], s[0:1], -v[175:176]
	v_add_f64 v[166:167], v[88:89], v[166:167]
	v_add_f64 v[168:169], v[183:184], v[168:169]
	v_fma_f64 v[185:186], v[226:227], s[26:27], v[189:190]
	v_mul_f64 v[183:184], v[220:221], s[20:21]
	v_add_f64 v[2:3], v[94:95], v[2:3]
	v_fma_f64 v[94:95], v[26:27], s[34:35], v[187:188]
	v_add_f64 v[173:174], v[177:178], v[173:174]
	v_fma_f64 v[177:178], v[212:213], s[20:21], v[4:5]
	v_fma_f64 v[181:182], v[206:207], s[24:25], -v[181:182]
	v_add_f64 v[166:167], v[175:176], v[166:167]
	v_mul_f64 v[175:176], v[92:93], s[44:45]
	v_fma_f64 v[189:190], v[34:35], s[40:41], v[179:180]
	v_add_f64 v[168:169], v[185:186], v[168:169]
	v_fma_f64 v[185:186], v[18:19], s[24:25], v[6:7]
	v_add_f64 v[94:95], v[94:95], v[2:3]
	v_add_f64 v[92:93], v[177:178], v[173:174]
	v_fma_f64 v[0:1], v[194:195], s[16:17], -v[0:1]
	v_add_f64 v[2:3], v[181:182], v[166:167]
	v_mul_f64 v[166:167], v[208:209], s[16:17]
	v_fma_f64 v[173:174], v[24:25], s[34:35], v[183:184]
	v_add_f64 v[177:178], v[90:91], v[189:190]
	v_fma_f64 v[181:182], v[14:15], s[20:21], v[175:176]
	v_add_f64 v[185:186], v[88:89], v[185:186]
	v_mul_f64 v[189:190], v[247:248], s[4:5]
	v_fma_f64 v[170:171], v[10:11], s[22:23], -v[170:171]
	v_add_f64 v[0:1], v[0:1], v[2:3]
	v_fma_f64 v[2:3], v[22:23], s[50:51], v[166:167]
	v_mul_f64 v[247:248], v[245:246], s[48:49]
	v_add_f64 v[173:174], v[173:174], v[177:178]
	v_mul_f64 v[177:178], v[198:199], s[28:29]
	v_add_f64 v[181:182], v[181:182], v[185:186]
	v_fma_f64 v[185:186], v[206:207], s[16:17], v[189:190]
	v_mul_f64 v[8:9], v[243:244], s[42:43]
	v_add_f64 v[0:1], v[170:171], v[0:1]
	v_mul_f64 v[170:171], v[192:193], s[0:1]
	v_fma_f64 v[187:188], v[26:27], s[44:45], v[187:188]
	v_add_f64 v[2:3], v[2:3], v[173:174]
	v_fma_f64 v[173:174], v[230:231], s[38:39], v[177:178]
	v_fma_f64 v[179:180], v[34:35], s[36:37], v[179:180]
	v_add_f64 v[181:182], v[185:186], v[181:182]
	v_fma_f64 v[185:186], v[194:195], s[28:29], v[247:248]
	v_fma_f64 v[24:25], v[24:25], s[44:45], v[183:184]
	;; [unrolled: 1-line block ×3, first 2 shown]
	v_add_f64 v[34:35], v[187:188], v[168:169]
	v_fma_f64 v[22:23], v[22:23], s[4:5], v[166:167]
	v_add_f64 v[2:3], v[173:174], v[2:3]
	v_fma_f64 v[173:174], v[10:11], s[0:1], v[8:9]
	v_add_f64 v[179:180], v[90:91], v[179:180]
	v_add_f64 v[181:182], v[185:186], v[181:182]
	v_mul_f64 v[185:186], v[218:219], s[22:23]
	buffer_store_dword v96, off, s[52:55], 0 offset:404 ; 4-byte Folded Spill
	s_nop 0
	buffer_store_dword v97, off, s[52:55], 0 offset:408 ; 4-byte Folded Spill
	v_mov_b32_e32 v96, v204
	v_mov_b32_e32 v97, v205
	v_add_f64 v[2:3], v[243:244], v[2:3]
	v_mov_b32_e32 v205, v203
	v_add_f64 v[24:25], v[24:25], v[179:180]
	v_add_f64 v[168:169], v[173:174], v[181:182]
	v_fma_f64 v[173:174], v[26:27], s[46:47], v[185:186]
	v_mov_b32_e32 v204, v202
	v_mov_b32_e32 v203, v201
	;; [unrolled: 1-line block ×5, first 2 shown]
	v_mul_f64 v[196:197], v[32:33], s[26:27]
	v_add_f64 v[22:23], v[22:23], v[24:25]
	v_add_f64 v[245:246], v[173:174], v[2:3]
	v_mul_f64 v[173:174], v[228:229], s[22:23]
	v_fma_f64 v[4:5], v[212:213], s[20:21], -v[4:5]
	v_fma_f64 v[6:7], v[18:19], s[24:25], -v[6:7]
	v_fma_f64 v[170:171], v[226:227], s[42:43], v[170:171]
	v_mul_f64 v[226:227], v[208:209], s[0:1]
	v_fma_f64 v[181:182], v[212:213], s[22:23], v[196:197]
	v_mul_f64 v[183:184], v[18:19], s[16:17]
	v_fma_f64 v[175:176], v[14:15], s[20:21], -v[175:176]
	v_add_f64 v[24:25], v[253:254], v[173:174]
	v_mul_f64 v[173:174], v[220:221], s[24:25]
	v_add_f64 v[32:33], v[4:5], v[0:1]
	v_mul_f64 v[0:1], v[18:19], s[0:1]
	v_add_f64 v[6:7], v[88:89], v[6:7]
	v_add_f64 v[243:244], v[181:182], v[168:169]
	v_mul_f64 v[168:169], v[18:19], s[20:21]
	v_mul_f64 v[18:19], v[18:19], s[22:23]
	v_add_f64 v[24:25], v[90:91], v[24:25]
	v_add_f64 v[132:133], v[132:133], v[173:174]
	;; [unrolled: 1-line block ×3, first 2 shown]
	v_mul_f64 v[179:180], v[14:15], s[16:17]
	v_fma_f64 v[26:27], v[26:27], s[26:27], v[185:186]
	v_mul_f64 v[185:186], v[14:15], s[22:23]
	v_add_f64 v[6:7], v[175:176], v[6:7]
	v_mul_f64 v[175:176], v[14:15], s[28:29]
	v_mul_f64 v[14:15], v[14:15], s[24:25]
	v_add_f64 v[24:25], v[132:133], v[24:25]
	v_mul_f64 v[132:133], v[198:199], s[20:21]
	v_add_f64 v[18:19], v[18:19], -v[36:37]
	v_mul_f64 v[36:37], v[192:193], s[28:29]
	v_mul_f64 v[166:167], v[228:229], s[20:21]
	v_fma_f64 v[8:9], v[10:11], s[0:1], -v[8:9]
	v_fma_f64 v[177:178], v[230:231], s[48:49], v[177:178]
	v_add_f64 v[14:15], v[14:15], -v[234:235]
	v_add_f64 v[24:25], v[164:165], v[24:25]
	v_add_f64 v[132:133], v[160:161], v[132:133]
	;; [unrolled: 1-line block ×4, first 2 shown]
	v_mul_f64 v[234:235], v[218:219], s[16:17]
	v_mul_f64 v[249:250], v[10:11], s[16:17]
	v_add_f64 v[28:29], v[28:29], v[166:167]
	v_mul_f64 v[166:167], v[212:213], s[16:17]
	v_fma_f64 v[189:190], v[206:207], s[16:17], -v[189:190]
	v_add_f64 v[24:25], v[132:133], v[24:25]
	v_mul_f64 v[132:133], v[10:11], s[24:25]
	v_add_f64 v[14:15], v[14:15], v[18:19]
	v_mul_f64 v[18:19], v[10:11], s[20:21]
	;; [unrolled: 2-line block ×5, first 2 shown]
	v_mul_f64 v[173:174], v[206:207], s[20:21]
	v_add_f64 v[6:7], v[189:190], v[6:7]
	v_mul_f64 v[189:190], v[206:207], s[28:29]
	v_add_f64 v[38:39], v[10:11], -v[38:39]
	v_fma_f64 v[228:229], v[194:195], s[28:29], -v[247:248]
	v_add_f64 v[22:23], v[170:171], v[22:23]
	v_add_f64 v[10:11], v[234:235], v[36:37]
	v_add_f64 v[36:37], v[166:167], -v[239:240]
	buffer_load_dword v166, off, s[52:55], 0 offset:220 ; 4-byte Folded Reload
	buffer_load_dword v167, off, s[52:55], 0 offset:224 ; 4-byte Folded Reload
	v_mul_f64 v[170:171], v[206:207], s[22:23]
	v_mul_f64 v[206:207], v[206:207], s[0:1]
	;; [unrolled: 1-line block ×3, first 2 shown]
	v_add_f64 v[6:7], v[228:229], v[6:7]
	v_mul_f64 v[228:229], v[194:195], s[22:23]
	v_mul_f64 v[230:231], v[194:195], s[0:1]
	;; [unrolled: 1-line block ×5, first 2 shown]
	v_add_f64 v[206:207], v[206:207], -v[241:242]
	v_mul_f64 v[241:242], v[192:193], s[24:25]
	v_mul_f64 v[191:192], v[192:193], s[16:17]
	v_mul_f64 v[187:188], v[220:221], s[22:23]
	v_mul_f64 v[220:221], v[220:221], s[28:29]
	v_add_f64 v[193:194], v[194:195], -v[236:237]
	v_add_f64 v[28:29], v[90:91], v[28:29]
	v_add_f64 v[162:163], v[90:91], v[162:163]
	;; [unrolled: 1-line block ×4, first 2 shown]
	v_mul_f64 v[177:178], v[208:209], s[20:21]
	v_mul_f64 v[226:227], v[208:209], s[28:29]
	v_add_f64 v[30:31], v[30:31], v[220:221]
	v_mul_f64 v[208:209], v[208:209], s[22:23]
	v_add_f64 v[6:7], v[8:9], v[6:7]
	v_add_f64 v[156:157], v[162:163], v[156:157]
	;; [unrolled: 1-line block ×4, first 2 shown]
	v_mul_f64 v[8:9], v[198:199], s[24:25]
	v_fma_f64 v[196:197], v[212:213], s[22:23], -v[196:197]
	v_add_f64 v[28:29], v[30:31], v[28:29]
	v_add_f64 v[30:31], v[210:211], v[187:188]
	;; [unrolled: 1-line block ×3, first 2 shown]
	v_mul_f64 v[26:27], v[218:219], s[0:1]
	v_add_f64 v[38:39], v[38:39], v[14:15]
	buffer_load_dword v14, off, s[52:55], 0 offset:276 ; 4-byte Folded Reload
	buffer_load_dword v15, off, s[52:55], 0 offset:280 ; 4-byte Folded Reload
	;; [unrolled: 1-line block ×4, first 2 shown]
	v_add_f64 v[146:147], v[150:151], v[146:147]
	v_add_f64 v[22:23], v[196:197], v[6:7]
	v_mul_f64 v[195:196], v[212:213], s[24:25]
	v_add_f64 v[8:9], v[216:217], v[8:9]
	v_mul_f64 v[160:161], v[198:199], s[22:23]
	v_mul_f64 v[6:7], v[212:213], s[0:1]
	;; [unrolled: 1-line block ×6, first 2 shown]
	v_add_f64 v[162:163], v[175:176], -v[224:225]
	v_add_f64 v[20:21], v[20:21], v[212:213]
	s_waitcnt vmcnt(4)
	v_add_f64 v[2:3], v[166:167], v[2:3]
	v_add_f64 v[166:167], v[168:169], -v[222:223]
	v_add_f64 v[2:3], v[90:91], v[2:3]
	v_add_f64 v[166:167], v[88:89], v[166:167]
	;; [unrolled: 1-line block ×5, first 2 shown]
	buffer_load_dword v12, off, s[52:55], 0 offset:244 ; 4-byte Folded Reload
	buffer_load_dword v13, off, s[52:55], 0 offset:248 ; 4-byte Folded Reload
	v_add_f64 v[156:157], v[162:163], v[166:167]
	s_waitcnt vmcnt(4)
	v_add_f64 v[14:15], v[14:15], v[208:209]
	s_waitcnt vmcnt(2)
	v_add_f64 v[158:159], v[158:159], v[198:199]
	v_add_f64 v[14:15], v[14:15], v[28:29]
	;; [unrolled: 1-line block ×12, first 2 shown]
	v_add_f64 v[30:31], v[195:196], -v[16:17]
	s_waitcnt vmcnt(0)
	v_add_f64 v[150:151], v[170:171], -v[12:13]
	buffer_load_dword v12, off, s[52:55], 0 offset:260 ; 4-byte Folded Reload
	buffer_load_dword v13, off, s[52:55], 0 offset:264 ; 4-byte Folded Reload
	;; [unrolled: 1-line block ×6, first 2 shown]
	v_add_f64 v[142:143], v[150:151], v[156:157]
	s_waitcnt vmcnt(4)
	v_add_f64 v[12:13], v[230:231], -v[12:13]
	s_waitcnt vmcnt(2)
	v_add_f64 v[16:17], v[249:250], -v[16:17]
	s_waitcnt vmcnt(0)
	v_add_f64 v[26:27], v[138:139], v[26:27]
	buffer_load_dword v138, off, s[52:55], 0 offset:332 ; 4-byte Folded Reload
	buffer_load_dword v139, off, s[52:55], 0 offset:336 ; 4-byte Folded Reload
	v_add_f64 v[12:13], v[12:13], v[142:143]
	s_waitcnt vmcnt(0)
	v_add_f64 v[4:5], v[138:139], v[4:5]
	v_add_f64 v[138:139], v[144:145], v[2:3]
	;; [unrolled: 1-line block ×4, first 2 shown]
	buffer_load_dword v28, off, s[52:55], 0 offset:308 ; 4-byte Folded Reload
	buffer_load_dword v29, off, s[52:55], 0 offset:312 ; 4-byte Folded Reload
	;; [unrolled: 1-line block ×4, first 2 shown]
	v_add_f64 v[134:135], v[185:186], -v[202:203]
	v_add_f64 v[4:5], v[90:91], v[4:5]
	buffer_load_dword v90, off, s[52:55], 0 offset:316 ; 4-byte Folded Reload
	buffer_load_dword v91, off, s[52:55], 0 offset:320 ; 4-byte Folded Reload
	v_add_f64 v[2:3], v[2:3], v[118:119]
	v_add_f64 v[8:9], v[8:9], v[116:117]
	buffer_load_dword v116, off, s[52:55], 0 offset:380 ; 4-byte Folded Reload
	buffer_load_dword v117, off, s[52:55], 0 offset:384 ; 4-byte Folded Reload
	;; [unrolled: 1-line block ×4, first 2 shown]
	v_add_f64 v[2:3], v[2:3], v[114:115]
	v_add_f64 v[8:9], v[8:9], v[112:113]
	;; [unrolled: 1-line block ×12, first 2 shown]
	s_waitcnt vmcnt(8)
	v_add_f64 v[0:1], v[0:1], -v[28:29]
	v_add_f64 v[28:29], v[183:184], -v[200:201]
	s_waitcnt vmcnt(6)
	v_add_f64 v[136:137], v[136:137], v[181:182]
	s_waitcnt vmcnt(4)
	v_add_f64 v[90:91], v[179:180], -v[90:91]
	v_add_f64 v[0:1], v[88:89], v[0:1]
	v_add_f64 v[28:29], v[88:89], v[28:29]
	v_add_f64 v[88:89], v[189:190], -v[204:205]
	s_waitcnt vmcnt(2)
	v_add_f64 v[116:117], v[116:117], v[177:178]
	v_add_f64 v[4:5], v[136:137], v[4:5]
	s_waitcnt vmcnt(0)
	v_add_f64 v[118:119], v[173:174], -v[118:119]
	v_add_f64 v[0:1], v[90:91], v[0:1]
	v_add_f64 v[90:91], v[164:165], -v[96:97]
	buffer_load_dword v96, off, s[52:55], 0 offset:340 ; 4-byte Folded Reload
	buffer_load_dword v97, off, s[52:55], 0 offset:344 ; 4-byte Folded Reload
	v_add_f64 v[28:29], v[134:135], v[28:29]
	v_add_f64 v[4:5], v[116:117], v[4:5]
	;; [unrolled: 1-line block ×5, first 2 shown]
	s_waitcnt vmcnt(0)
	v_add_f64 v[112:113], v[96:97], v[160:161]
	buffer_load_dword v96, off, s[52:55], 0 offset:300 ; 4-byte Folded Reload
	buffer_load_dword v97, off, s[52:55], 0 offset:304 ; 4-byte Folded Reload
	buffer_load_dword v88, off, s[52:55], 0 offset:388 ; 4-byte Folded Reload
	buffer_load_dword v89, off, s[52:55], 0 offset:392 ; 4-byte Folded Reload
	v_add_f64 v[4:5], v[112:113], v[4:5]
	s_waitcnt vmcnt(2)
	v_add_f64 v[114:115], v[228:229], -v[96:97]
	s_waitcnt vmcnt(0)
	v_add_f64 v[18:19], v[18:19], -v[88:89]
	buffer_load_dword v88, off, s[52:55], 0 offset:324 ; 4-byte Folded Reload
	buffer_load_dword v89, off, s[52:55], 0 offset:328 ; 4-byte Folded Reload
	;; [unrolled: 1-line block ×6, first 2 shown]
	v_add_f64 v[0:1], v[114:115], v[0:1]
	v_add_f64 v[28:29], v[18:19], v[28:29]
	s_waitcnt vmcnt(4)
	v_add_f64 v[88:89], v[88:89], v[241:242]
	s_waitcnt vmcnt(2)
	v_add_f64 v[108:109], v[132:133], -v[96:97]
	s_waitcnt vmcnt(0)
	v_add_f64 v[90:91], v[6:7], -v[90:91]
	buffer_load_dword v6, off, s[52:55], 0 offset:364 ; 4-byte Folded Reload
	buffer_load_dword v7, off, s[52:55], 0 offset:368 ; 4-byte Folded Reload
	v_add_f64 v[4:5], v[88:89], v[4:5]
	v_add_f64 v[0:1], v[108:109], v[0:1]
	s_waitcnt vmcnt(0)
	v_add_f64 v[104:105], v[6:7], v[206:207]
	buffer_load_dword v6, off, s[52:55], 0 offset:348 ; 4-byte Folded Reload
	buffer_load_dword v7, off, s[52:55], 0 offset:352 ; 4-byte Folded Reload
	v_add_f64 v[14:15], v[104:105], v[4:5]
	buffer_load_dword v4, off, s[52:55], 0 offset:404 ; 4-byte Folded Reload
	buffer_load_dword v5, off, s[52:55], 0 offset:408 ; 4-byte Folded Reload
	;; [unrolled: 1-line block ×4, first 2 shown]
	s_waitcnt vmcnt(4)
	v_add_f64 v[88:89], v[236:237], -v[6:7]
	v_add_f64 v[6:7], v[26:27], v[138:139]
	s_waitcnt vmcnt(2)
	v_add_f64 v[18:19], v[100:101], v[4:5]
	v_add_f64 v[12:13], v[88:89], v[0:1]
	;; [unrolled: 1-line block ×4, first 2 shown]
	s_waitcnt vmcnt(1)
	v_mul_u32_u24_e32 v20, 26, v20
	s_waitcnt vmcnt(0)
	v_or_b32_e32 v20, v20, v21
	v_lshlrev_b32_e32 v20, 4, v20
	ds_write_b128 v20, v[16:19]
	ds_write_b128 v20, v[12:15] offset:32
	ds_write_b128 v20, v[4:7] offset:64
	;; [unrolled: 1-line block ×12, first 2 shown]
.LBB0_5:
	s_or_b64 exec, exec, s[30:31]
	s_waitcnt vmcnt(0) lgkmcnt(0)
	s_barrier
	ds_read_b128 v[136:139], v255
	ds_read_b128 v[132:135], v255 offset:1872
	ds_read_b128 v[156:159], v255 offset:12480
	;; [unrolled: 1-line block ×8, first 2 shown]
	buffer_load_dword v241, off, s[52:55], 0 offset:24 ; 4-byte Folded Reload
	s_waitcnt vmcnt(0)
	v_cmp_gt_u16_e64 s[0:1], 39, v241
	s_and_saveexec_b64 s[4:5], s[0:1]
	s_cbranch_execz .LBB0_7
; %bb.6:
	ds_read_b128 v[120:123], v255 offset:5616
	ds_read_b128 v[128:131], v255 offset:11856
	;; [unrolled: 1-line block ×3, first 2 shown]
.LBB0_7:
	s_or_b64 exec, exec, s[4:5]
	s_movk_i32 s4, 0x4f
	v_mul_lo_u16_sdwa v0, v241, s4 dst_sel:DWORD dst_unused:UNUSED_PAD src0_sel:BYTE_0 src1_sel:DWORD
	v_lshrrev_b16_e32 v88, 11, v0
	v_mul_lo_u16_e32 v0, 26, v88
	v_sub_u16_e32 v0, v241, v0
	v_and_b32_e32 v89, 0xff, v0
	v_lshlrev_b32_e32 v0, 5, v89
	global_load_dwordx4 v[174:177], v0, s[14:15] offset:400
	global_load_dwordx4 v[92:95], v0, s[14:15] offset:384
	v_mul_lo_u16_sdwa v0, v238, s4 dst_sel:DWORD dst_unused:UNUSED_PAD src0_sel:BYTE_0 src1_sel:DWORD
	v_lshrrev_b16_e32 v90, 11, v0
	v_mul_lo_u16_e32 v0, 26, v90
	v_sub_u16_e32 v0, v238, v0
	v_and_b32_e32 v91, 0xff, v0
	v_lshlrev_b32_e32 v0, 5, v91
	s_movk_i32 s4, 0x4ec5
	global_load_dwordx4 v[96:99], v0, s[14:15] offset:400
	global_load_dwordx4 v[100:103], v0, s[14:15] offset:384
	v_mul_u32_u24_sdwa v0, v172, s4 dst_sel:DWORD dst_unused:UNUSED_PAD src0_sel:WORD_0 src1_sel:DWORD
	v_lshrrev_b32_e32 v173, 19, v0
	v_mul_lo_u16_e32 v0, 26, v173
	v_sub_u16_e32 v172, v172, v0
	v_lshlrev_b16_e32 v0, 5, v172
	v_mov_b32_e32 v2, s15
	v_add_co_u32_e32 v0, vcc, s14, v0
	v_addc_co_u32_e32 v1, vcc, 0, v2, vcc
	global_load_dwordx4 v[104:107], v[0:1], off offset:400
	global_load_dwordx4 v[108:111], v[0:1], off offset:384
	s_mov_b32 s17, 0xbfebb67a
	buffer_load_dword v1, off, s[52:55], 0 offset:16 ; 4-byte Folded Reload
	v_lshlrev_b32_e32 v29, 1, v241
	v_lshlrev_b32_e32 v28, 1, v238
	s_waitcnt vmcnt(6) lgkmcnt(6)
	v_mul_f64 v[4:5], v[158:159], v[176:177]
	v_mul_f64 v[6:7], v[156:157], v[176:177]
	s_waitcnt vmcnt(4) lgkmcnt(5)
	v_mul_f64 v[12:13], v[146:147], v[98:99]
	v_fma_f64 v[38:39], v[156:157], v[174:175], -v[4:5]
	s_waitcnt vmcnt(3) lgkmcnt(2)
	v_mul_f64 v[8:9], v[166:167], v[102:103]
	v_mul_f64 v[10:11], v[164:165], v[102:103]
	;; [unrolled: 1-line block ×3, first 2 shown]
	v_fma_f64 v[12:13], v[144:145], v[96:97], -v[12:13]
	v_fma_f64 v[8:9], v[164:165], v[100:101], -v[8:9]
	s_waitcnt vmcnt(2) lgkmcnt(0)
	v_mul_f64 v[20:21], v[150:151], v[106:107]
	s_waitcnt vmcnt(1)
	v_mul_f64 v[16:17], v[162:163], v[110:111]
	v_mul_f64 v[18:19], v[160:161], v[110:111]
	s_waitcnt vmcnt(0)
	v_mul_u32_u24_sdwa v0, v1, s4 dst_sel:DWORD dst_unused:UNUSED_PAD src0_sel:WORD_0 src1_sel:DWORD
	v_lshrrev_b32_e32 v0, 19, v0
	buffer_store_dword v0, off, s[52:55], 0 offset:244 ; 4-byte Folded Spill
	v_mul_lo_u16_e32 v0, 26, v0
	v_sub_u16_e32 v245, v1, v0
	v_lshlrev_b16_e32 v0, 5, v245
	v_add_co_u32_e32 v0, vcc, s14, v0
	v_addc_co_u32_e32 v1, vcc, 0, v2, vcc
	global_load_dwordx4 v[116:119], v[0:1], off offset:384
	global_load_dwordx4 v[112:115], v[0:1], off offset:400
	s_nop 0
	buffer_store_dword v174, off, s[52:55], 0 offset:220 ; 4-byte Folded Spill
	s_nop 0
	buffer_store_dword v175, off, s[52:55], 0 offset:224 ; 4-byte Folded Spill
	buffer_store_dword v176, off, s[52:55], 0 offset:228 ; 4-byte Folded Spill
	;; [unrolled: 1-line block ×3, first 2 shown]
	v_mul_f64 v[0:1], v[170:171], v[94:95]
	v_mul_f64 v[2:3], v[168:169], v[94:95]
	;; [unrolled: 1-line block ×3, first 2 shown]
	v_fma_f64 v[10:11], v[166:167], v[100:101], v[10:11]
	v_fma_f64 v[14:15], v[146:147], v[96:97], v[14:15]
	v_fma_f64 v[16:17], v[160:161], v[108:109], -v[16:17]
	v_fma_f64 v[18:19], v[162:163], v[108:109], v[18:19]
	v_fma_f64 v[20:21], v[148:149], v[104:105], -v[20:21]
	v_fma_f64 v[34:35], v[168:169], v[92:93], -v[0:1]
	v_fma_f64 v[36:37], v[170:171], v[92:93], v[2:3]
	v_fma_f64 v[144:145], v[150:151], v[104:105], v[22:23]
	v_add_f64 v[146:147], v[8:9], -v[12:13]
	s_mov_b32 s4, 0xe8584caa
	v_add_f64 v[148:149], v[140:141], v[16:17]
	v_add_f64 v[160:161], v[142:143], v[18:19]
	;; [unrolled: 1-line block ×4, first 2 shown]
	v_add_f64 v[162:163], v[16:17], -v[20:21]
	s_mov_b32 s5, 0x3febb67a
	s_mov_b32 s16, s4
	v_add_f64 v[16:17], v[148:149], v[20:21]
	s_waitcnt vmcnt(0)
	s_barrier
	v_fma_f64 v[156:157], v[158:159], v[174:175], v[6:7]
	v_mul_f64 v[24:25], v[130:131], v[118:119]
	v_mul_f64 v[26:27], v[128:129], v[118:119]
	;; [unrolled: 1-line block ×4, first 2 shown]
	v_add_f64 v[158:159], v[18:19], -v[144:145]
	v_add_f64 v[18:19], v[18:19], v[144:145]
	v_fma_f64 v[0:1], v[128:129], v[116:117], -v[24:25]
	v_fma_f64 v[6:7], v[130:131], v[116:117], v[26:27]
	v_fma_f64 v[2:3], v[124:125], v[112:113], -v[30:31]
	v_fma_f64 v[4:5], v[126:127], v[112:113], v[32:33]
	v_add_f64 v[24:25], v[34:35], v[38:39]
	v_add_f64 v[30:31], v[138:139], v[36:37]
	;; [unrolled: 1-line block ×3, first 2 shown]
	v_add_f64 v[26:27], v[36:37], -v[156:157]
	v_add_f64 v[36:37], v[132:133], v[8:9]
	v_add_f64 v[124:125], v[8:9], v[12:13]
	v_add_f64 v[130:131], v[10:11], v[14:15]
	v_add_f64 v[164:165], v[0:1], v[2:3]
	v_add_f64 v[168:169], v[6:7], v[4:5]
	v_add_f64 v[34:35], v[34:35], -v[38:39]
	v_add_f64 v[126:127], v[10:11], -v[14:15]
	v_add_f64 v[128:129], v[134:135], v[10:11]
	v_add_f64 v[8:9], v[22:23], v[38:39]
	v_fma_f64 v[22:23], v[24:25], -0.5, v[136:137]
	v_add_f64 v[10:11], v[30:31], v[156:157]
	v_fma_f64 v[30:31], v[32:33], -0.5, v[138:139]
	v_add_f64 v[166:167], v[6:7], -v[4:5]
	v_add_f64 v[12:13], v[36:37], v[12:13]
	v_fma_f64 v[32:33], v[124:125], -0.5, v[132:133]
	v_fma_f64 v[36:37], v[130:131], -0.5, v[134:135]
	;; [unrolled: 1-line block ×4, first 2 shown]
	v_add_f64 v[136:137], v[0:1], -v[2:3]
	v_fma_f64 v[38:39], v[150:151], -0.5, v[140:141]
	v_fma_f64 v[130:131], v[18:19], -0.5, v[142:143]
	v_fma_f64 v[20:21], v[26:27], s[4:5], v[22:23]
	v_fma_f64 v[24:25], v[26:27], s[16:17], v[22:23]
	;; [unrolled: 1-line block ×4, first 2 shown]
	v_add_f64 v[14:15], v[128:129], v[14:15]
	v_add_f64 v[18:19], v[160:161], v[144:145]
	v_fma_f64 v[188:189], v[166:167], s[4:5], v[132:133]
	v_fma_f64 v[192:193], v[166:167], s[16:17], v[132:133]
	;; [unrolled: 1-line block ×12, first 2 shown]
	v_mul_u32_u24_e32 v38, 0x4e, v88
	v_add_lshl_u32 v88, v38, v89, 4
	s_movk_i32 s16, 0x4e
	ds_write_b128 v88, v[8:11]
	ds_write_b128 v88, v[20:23] offset:416
	ds_write_b128 v88, v[24:27] offset:832
	v_mul_u32_u24_e32 v8, 0x4e, v90
	v_add_lshl_u32 v89, v8, v91, 4
	v_mad_legacy_u16 v8, v173, s16, v172
	v_lshlrev_b32_e32 v90, 4, v8
	ds_write_b128 v89, v[12:15]
	ds_write_b128 v89, v[30:33] offset:416
	ds_write_b128 v89, v[34:37] offset:832
	ds_write_b128 v90, v[16:19]
	ds_write_b128 v90, v[124:127] offset:416
	ds_write_b128 v90, v[128:131] offset:832
	s_and_saveexec_b64 s[4:5], s[0:1]
	s_cbranch_execz .LBB0_9
; %bb.8:
	v_add_f64 v[0:1], v[120:121], v[0:1]
	v_add_f64 v[6:7], v[122:123], v[6:7]
	;; [unrolled: 1-line block ×3, first 2 shown]
	buffer_load_dword v0, off, s[52:55], 0 offset:244 ; 4-byte Folded Reload
	v_add_f64 v[4:5], v[6:7], v[4:5]
	s_waitcnt vmcnt(0)
	v_mad_legacy_u16 v0, v0, s16, v245
	v_lshlrev_b32_e32 v0, 4, v0
	ds_write_b128 v0, v[188:191] offset:416
	ds_write_b128 v0, v[2:5]
	ds_write_b128 v0, v[192:195] offset:832
.LBB0_9:
	s_or_b64 exec, exec, s[4:5]
	s_movk_i32 s4, 0xffb2
	v_add_co_u32_e32 v16, vcc, s4, v241
	v_addc_co_u32_e64 v17, s[4:5], 0, -1, vcc
	v_cmp_gt_u16_e32 vcc, s16, v241
	v_cndmask_b32_e64 v183, v17, 0, vcc
	v_cndmask_b32_e32 v182, v16, v241, vcc
	v_lshlrev_b64 v[16:17], 6, v[182:183]
	v_mov_b32_e32 v18, s15
	v_add_co_u32_e32 v16, vcc, s14, v16
	v_addc_co_u32_e32 v17, vcc, v18, v17, vcc
	s_waitcnt lgkmcnt(0)
	s_barrier
	ds_read_b128 v[170:173], v255
	ds_read_b128 v[0:3], v255 offset:3744
	ds_read_b128 v[4:7], v255 offset:7488
	ds_read_b128 v[8:11], v255 offset:11232
	ds_read_b128 v[12:15], v255 offset:14976
	ds_read_b128 v[156:159], v255 offset:1872
	ds_read_b128 v[32:35], v255 offset:5616
	ds_read_b128 v[36:39], v255 offset:9360
	ds_read_b128 v[160:163], v255 offset:13104
	ds_read_b128 v[164:167], v255 offset:16848
	global_load_dwordx4 v[120:123], v[16:17], off offset:1264
	global_load_dwordx4 v[124:127], v[16:17], off offset:1248
	;; [unrolled: 1-line block ×4, first 2 shown]
	s_mov_b32 s18, 0x134454ff
	s_mov_b32 s19, 0x3fee6f0e
	;; [unrolled: 1-line block ×10, first 2 shown]
	s_waitcnt vmcnt(0) lgkmcnt(8)
	v_mul_f64 v[16:17], v[2:3], v[134:135]
	v_fma_f64 v[26:27], v[0:1], v[132:133], -v[16:17]
	v_mul_f64 v[0:1], v[0:1], v[134:135]
	v_fma_f64 v[16:17], v[2:3], v[132:133], v[0:1]
	s_waitcnt lgkmcnt(7)
	v_mul_f64 v[0:1], v[6:7], v[130:131]
	v_fma_f64 v[24:25], v[4:5], v[128:129], -v[0:1]
	v_mul_f64 v[0:1], v[4:5], v[130:131]
	v_fma_f64 v[18:19], v[6:7], v[128:129], v[0:1]
	s_waitcnt lgkmcnt(6)
	;; [unrolled: 5-line block ×3, first 2 shown]
	v_mul_f64 v[0:1], v[14:15], v[122:123]
	v_fma_f64 v[180:181], v[12:13], v[120:121], -v[0:1]
	v_mul_f64 v[0:1], v[12:13], v[122:123]
	v_fma_f64 v[22:23], v[14:15], v[120:121], v[0:1]
	v_lshrrev_b16_e32 v0, 1, v238
	v_and_b32_e32 v0, 0x7f, v0
	v_mul_lo_u16_e32 v0, 0xd3, v0
	v_lshrrev_b16_e32 v30, 13, v0
	v_mul_lo_u16_e32 v0, 0x4e, v30
	v_sub_u16_e32 v0, v238, v0
	v_and_b32_e32 v31, 0xff, v0
	v_lshlrev_b32_e32 v0, 6, v31
	global_load_dwordx4 v[136:139], v0, s[14:15] offset:1264
	global_load_dwordx4 v[140:143], v0, s[14:15] offset:1248
	;; [unrolled: 1-line block ×4, first 2 shown]
	s_waitcnt vmcnt(0) lgkmcnt(0)
	s_barrier
	v_mul_f64 v[6:7], v[166:167], v[138:139]
	v_mul_f64 v[4:5], v[162:163], v[142:143]
	;; [unrolled: 1-line block ×4, first 2 shown]
	v_fma_f64 v[14:15], v[164:165], v[136:137], -v[6:7]
	v_fma_f64 v[12:13], v[160:161], v[140:141], -v[4:5]
	v_mul_f64 v[4:5], v[160:161], v[142:143]
	v_fma_f64 v[8:9], v[32:33], v[148:149], -v[0:1]
	v_mul_f64 v[0:1], v[32:33], v[150:151]
	v_add_f64 v[32:33], v[170:171], v[26:27]
	v_fma_f64 v[10:11], v[36:37], v[144:145], -v[2:3]
	v_mul_f64 v[2:3], v[36:37], v[146:147]
	v_mul_f64 v[6:7], v[164:165], v[138:139]
	v_add_f64 v[164:165], v[180:181], -v[176:177]
	v_fma_f64 v[4:5], v[162:163], v[140:141], v[4:5]
	v_add_f64 v[162:163], v[26:27], -v[24:25]
	v_fma_f64 v[0:1], v[34:35], v[148:149], v[0:1]
	v_add_f64 v[32:33], v[32:33], v[24:25]
	v_add_f64 v[34:35], v[16:17], -v[22:23]
	v_fma_f64 v[2:3], v[38:39], v[144:145], v[2:3]
	v_add_f64 v[38:39], v[18:19], -v[20:21]
	v_fma_f64 v[6:7], v[166:167], v[136:137], v[6:7]
	v_add_f64 v[166:167], v[176:177], -v[180:181]
	v_add_f64 v[162:163], v[162:163], v[164:165]
	v_add_f64 v[32:33], v[32:33], v[176:177]
	;; [unrolled: 1-line block ×4, first 2 shown]
	v_fma_f64 v[32:33], v[32:33], -0.5, v[170:171]
	v_fma_f64 v[36:37], v[34:35], s[18:19], v[32:33]
	v_fma_f64 v[32:33], v[34:35], s[20:21], v[32:33]
	;; [unrolled: 1-line block ×6, first 2 shown]
	v_add_f64 v[32:33], v[26:27], v[180:181]
	v_add_f64 v[162:163], v[24:25], -v[26:27]
	v_add_f64 v[26:27], v[26:27], -v[180:181]
	;; [unrolled: 1-line block ×3, first 2 shown]
	v_fma_f64 v[32:33], v[32:33], -0.5, v[170:171]
	v_add_f64 v[162:163], v[162:163], v[166:167]
	v_fma_f64 v[36:37], v[38:39], s[20:21], v[32:33]
	v_fma_f64 v[32:33], v[38:39], s[18:19], v[32:33]
	v_add_f64 v[38:39], v[22:23], -v[20:21]
	v_fma_f64 v[36:37], v[34:35], s[16:17], v[36:37]
	v_fma_f64 v[32:33], v[34:35], s[22:23], v[32:33]
	;; [unrolled: 1-line block ×4, first 2 shown]
	v_add_f64 v[32:33], v[172:173], v[16:17]
	v_add_f64 v[36:37], v[16:17], -v[18:19]
	v_add_f64 v[32:33], v[32:33], v[18:19]
	v_add_f64 v[36:37], v[36:37], v[38:39]
	;; [unrolled: 1-line block ×5, first 2 shown]
	v_fma_f64 v[32:33], v[32:33], -0.5, v[172:173]
	v_fma_f64 v[34:35], v[26:27], s[20:21], v[32:33]
	v_fma_f64 v[32:33], v[26:27], s[18:19], v[32:33]
	;; [unrolled: 1-line block ×6, first 2 shown]
	v_add_f64 v[32:33], v[16:17], v[22:23]
	v_add_f64 v[16:17], v[18:19], -v[16:17]
	v_add_f64 v[18:19], v[20:21], -v[22:23]
	;; [unrolled: 1-line block ×3, first 2 shown]
	v_fma_f64 v[32:33], v[32:33], -0.5, v[172:173]
	v_add_f64 v[16:17], v[16:17], v[18:19]
	v_fma_f64 v[18:19], v[24:25], s[20:21], v[32:33]
	v_fma_f64 v[34:35], v[24:25], s[18:19], v[32:33]
	v_add_f64 v[24:25], v[8:9], -v[10:11]
	v_add_f64 v[32:33], v[14:15], -v[12:13]
	v_fma_f64 v[18:19], v[26:27], s[16:17], v[18:19]
	v_fma_f64 v[34:35], v[26:27], s[22:23], v[34:35]
	v_add_f64 v[26:27], v[2:3], -v[4:5]
	v_add_f64 v[24:25], v[24:25], v[32:33]
	v_add_f64 v[32:33], v[10:11], -v[8:9]
	v_fma_f64 v[176:177], v[16:17], s[4:5], v[18:19]
	v_add_f64 v[18:19], v[10:11], v[12:13]
	v_fma_f64 v[180:181], v[16:17], s[4:5], v[34:35]
	v_add_f64 v[16:17], v[156:157], v[8:9]
	v_add_f64 v[34:35], v[12:13], -v[14:15]
	v_fma_f64 v[18:19], v[18:19], -0.5, v[156:157]
	v_add_f64 v[16:17], v[16:17], v[10:11]
	v_add_f64 v[10:11], v[10:11], -v[12:13]
	v_add_f64 v[32:33], v[32:33], v[34:35]
	v_fma_f64 v[20:21], v[22:23], s[18:19], v[18:19]
	v_fma_f64 v[18:19], v[22:23], s[20:21], v[18:19]
	v_add_f64 v[16:17], v[16:17], v[12:13]
	v_fma_f64 v[20:21], v[26:27], s[16:17], v[20:21]
	v_fma_f64 v[18:19], v[26:27], s[22:23], v[18:19]
	;; [unrolled: 3-line block ×3, first 2 shown]
	v_add_f64 v[18:19], v[8:9], v[14:15]
	v_add_f64 v[8:9], v[8:9], -v[14:15]
	v_fma_f64 v[18:19], v[18:19], -0.5, v[156:157]
	v_fma_f64 v[24:25], v[26:27], s[20:21], v[18:19]
	v_fma_f64 v[18:19], v[26:27], s[18:19], v[18:19]
	;; [unrolled: 1-line block ×4, first 2 shown]
	v_add_f64 v[22:23], v[2:3], v[4:5]
	v_fma_f64 v[24:25], v[32:33], s[4:5], v[24:25]
	v_fma_f64 v[32:33], v[32:33], s[4:5], v[18:19]
	v_fma_f64 v[26:27], v[22:23], -0.5, v[158:159]
	v_add_f64 v[22:23], v[6:7], -v[4:5]
	v_add_f64 v[18:19], v[158:159], v[0:1]
	v_fma_f64 v[14:15], v[8:9], s[20:21], v[26:27]
	v_add_f64 v[18:19], v[18:19], v[2:3]
	v_fma_f64 v[12:13], v[10:11], s[22:23], v[14:15]
	v_add_f64 v[14:15], v[0:1], -v[2:3]
	v_add_f64 v[18:19], v[18:19], v[4:5]
	v_add_f64 v[14:15], v[14:15], v[22:23]
	;; [unrolled: 1-line block ×3, first 2 shown]
	v_fma_f64 v[22:23], v[14:15], s[4:5], v[12:13]
	v_fma_f64 v[12:13], v[8:9], s[18:19], v[26:27]
	;; [unrolled: 1-line block ×4, first 2 shown]
	v_add_f64 v[12:13], v[0:1], v[6:7]
	v_add_f64 v[0:1], v[2:3], -v[0:1]
	v_add_f64 v[2:3], v[4:5], -v[6:7]
	v_fma_f64 v[12:13], v[12:13], -0.5, v[158:159]
	v_add_f64 v[0:1], v[0:1], v[2:3]
	v_fma_f64 v[14:15], v[10:11], s[18:19], v[12:13]
	v_fma_f64 v[2:3], v[10:11], s[20:21], v[12:13]
	v_fma_f64 v[14:15], v[8:9], s[22:23], v[14:15]
	v_fma_f64 v[2:3], v[8:9], s[16:17], v[2:3]
	v_fma_f64 v[26:27], v[0:1], s[4:5], v[14:15]
	v_fma_f64 v[34:35], v[0:1], s[4:5], v[2:3]
	s_movk_i32 s4, 0x4d
	v_cmp_lt_u16_e32 vcc, s4, v241
	v_mov_b32_e32 v0, 0x186
	v_cndmask_b32_e32 v0, 0, v0, vcc
	v_add_lshl_u32 v91, v182, v0, 4
	v_mul_u32_u24_e32 v0, 0x186, v30
	v_add_lshl_u32 v238, v0, v31, 4
	ds_write_b128 v91, v[160:163]
	ds_write_b128 v91, v[164:167] offset:1248
	ds_write_b128 v91, v[178:181] offset:2496
	;; [unrolled: 1-line block ×4, first 2 shown]
	ds_write_b128 v238, v[16:19]
	ds_write_b128 v238, v[20:23] offset:1248
	ds_write_b128 v238, v[24:27] offset:2496
	;; [unrolled: 1-line block ×4, first 2 shown]
	s_waitcnt lgkmcnt(0)
	s_barrier
	ds_read_b128 v[208:211], v255
	ds_read_b128 v[176:179], v255 offset:6240
	ds_read_b128 v[172:175], v255 offset:12480
	;; [unrolled: 1-line block ×8, first 2 shown]
	s_and_saveexec_b64 s[4:5], s[0:1]
	s_cbranch_execz .LBB0_11
; %bb.10:
	ds_read_b128 v[200:203], v255 offset:5616
	ds_read_b128 v[188:191], v255 offset:11856
	;; [unrolled: 1-line block ×3, first 2 shown]
.LBB0_11:
	s_or_b64 exec, exec, s[4:5]
	buffer_load_dword v0, off, s[52:55], 0  ; 4-byte Folded Reload
	v_mov_b32_e32 v4, s15
	s_movk_i32 s5, 0x1840
	s_movk_i32 s4, 0x1000
	;; [unrolled: 1-line block ×3, first 2 shown]
	s_waitcnt vmcnt(0)
	v_add_u32_e32 v8, 0x3a80, v0
	v_lshlrev_b32_e32 v0, 4, v29
	v_add_co_u32_e32 v2, vcc, s14, v0
	v_addc_co_u32_e32 v3, vcc, 0, v4, vcc
	v_add_co_u32_e32 v0, vcc, s5, v2
	v_addc_co_u32_e32 v1, vcc, 0, v3, vcc
	;; [unrolled: 2-line block ×3, first 2 shown]
	global_load_dwordx4 v[156:159], v[2:3], off offset:2112
	global_load_dwordx4 v[160:163], v[0:1], off offset:16
	s_waitcnt vmcnt(1) lgkmcnt(7)
	v_mul_f64 v[0:1], v[178:179], v[158:159]
	v_fma_f64 v[15:16], v[176:177], v[156:157], -v[0:1]
	v_mul_f64 v[0:1], v[176:177], v[158:159]
	v_add_f64 v[9:10], v[208:209], v[15:16]
	v_fma_f64 v[19:20], v[178:179], v[156:157], v[0:1]
	s_waitcnt vmcnt(0) lgkmcnt(6)
	v_mul_f64 v[0:1], v[174:175], v[162:163]
	v_fma_f64 v[21:22], v[172:173], v[160:161], -v[0:1]
	v_mul_f64 v[0:1], v[172:173], v[162:163]
	v_add_f64 v[11:12], v[15:16], v[21:22]
	v_fma_f64 v[23:24], v[174:175], v[160:161], v[0:1]
	v_lshlrev_b32_e32 v0, 4, v28
	v_add_co_u32_e32 v2, vcc, s14, v0
	v_addc_co_u32_e32 v3, vcc, 0, v4, vcc
	v_add_co_u32_e32 v0, vcc, s5, v2
	v_addc_co_u32_e32 v1, vcc, 0, v3, vcc
	;; [unrolled: 2-line block ×3, first 2 shown]
	global_load_dwordx4 v[172:175], v[2:3], off offset:2112
	global_load_dwordx4 v[176:179], v[0:1], off offset:16
	v_fma_f64 v[11:12], v[11:12], -0.5, v[208:209]
	v_add_f64 v[17:18], v[19:20], -v[23:24]
	v_add_f64 v[9:10], v[9:10], v[21:22]
	v_add_f64 v[21:22], v[15:16], -v[21:22]
	s_waitcnt vmcnt(1) lgkmcnt(4)
	v_mul_f64 v[0:1], v[182:183], v[174:175]
	v_fma_f64 v[27:28], v[180:181], v[172:173], -v[0:1]
	v_mul_f64 v[0:1], v[180:181], v[174:175]
	v_fma_f64 v[31:32], v[182:183], v[172:173], v[0:1]
	s_waitcnt vmcnt(0) lgkmcnt(3)
	v_mul_f64 v[0:1], v[186:187], v[178:179]
	v_fma_f64 v[33:34], v[184:185], v[176:177], -v[0:1]
	v_mul_f64 v[0:1], v[184:185], v[178:179]
	v_fma_f64 v[35:36], v[186:187], v[176:177], v[0:1]
	buffer_load_dword v0, off, s[52:55], 0 offset:8 ; 4-byte Folded Reload
	v_add_f64 v[29:30], v[31:32], -v[35:36]
	s_waitcnt vmcnt(0)
	v_add_co_u32_e32 v2, vcc, s14, v0
	v_addc_co_u32_e32 v3, vcc, 0, v4, vcc
	v_add_co_u32_e32 v0, vcc, s5, v2
	v_addc_co_u32_e32 v1, vcc, 0, v3, vcc
	;; [unrolled: 2-line block ×3, first 2 shown]
	global_load_dwordx4 v[184:187], v[2:3], off offset:2112
	global_load_dwordx4 v[180:183], v[0:1], off offset:16
	s_waitcnt vmcnt(1) lgkmcnt(1)
	v_mul_f64 v[0:1], v[170:171], v[186:187]
	buffer_load_dword v2, off, s[52:55], 0 offset:236 ; 4-byte Folded Reload
	v_fma_f64 v[37:38], v[168:169], v[184:185], -v[0:1]
	v_mul_f64 v[0:1], v[168:169], v[186:187]
	v_fma_f64 v[212:213], v[170:171], v[184:185], v[0:1]
	s_waitcnt vmcnt(1) lgkmcnt(0)
	v_mul_f64 v[0:1], v[166:167], v[182:183]
	v_fma_f64 v[214:215], v[164:165], v[180:181], -v[0:1]
	v_mul_f64 v[0:1], v[164:165], v[182:183]
	v_fma_f64 v[216:217], v[166:167], v[180:181], v[0:1]
	v_add_co_u32_e32 v0, vcc, s15, v241
	v_addc_co_u32_e64 v1, s[16:17], 0, -1, vcc
	s_mov_b32 s15, 0xbfebb67a
	s_waitcnt vmcnt(0)
	v_cndmask_b32_e64 v1, v1, v2, s[0:1]
	buffer_load_dword v2, off, s[52:55], 0 offset:16 ; 4-byte Folded Reload
	s_waitcnt vmcnt(0)
	v_cndmask_b32_e64 v0, v0, v2, s[0:1]
	v_lshlrev_b64 v[0:1], 5, v[0:1]
	v_add_co_u32_e32 v2, vcc, s14, v0
	v_addc_co_u32_e32 v3, vcc, v4, v1, vcc
	v_add_co_u32_e32 v0, vcc, s5, v2
	v_addc_co_u32_e32 v1, vcc, 0, v3, vcc
	;; [unrolled: 2-line block ×3, first 2 shown]
	global_load_dwordx4 v[164:167], v[2:3], off offset:2112
	global_load_dwordx4 v[168:171], v[0:1], off offset:16
	s_mov_b32 s4, 0xe8584caa
	s_mov_b32 s5, 0x3febb67a
	;; [unrolled: 1-line block ×3, first 2 shown]
	v_fma_f64 v[13:14], v[17:18], s[4:5], v[11:12]
	v_fma_f64 v[17:18], v[17:18], s[14:15], v[11:12]
	v_add_f64 v[11:12], v[210:211], v[19:20]
	v_add_f64 v[19:20], v[19:20], v[23:24]
	;; [unrolled: 1-line block ×4, first 2 shown]
	v_fma_f64 v[19:20], v[19:20], -0.5, v[210:211]
	v_fma_f64 v[23:24], v[23:24], -0.5, v[204:205]
	v_fma_f64 v[15:16], v[21:22], s[14:15], v[19:20]
	v_fma_f64 v[19:20], v[21:22], s[4:5], v[19:20]
	v_add_f64 v[21:22], v[204:205], v[27:28]
	v_fma_f64 v[25:26], v[29:30], s[4:5], v[23:24]
	v_fma_f64 v[29:30], v[29:30], s[14:15], v[23:24]
	v_add_f64 v[23:24], v[206:207], v[31:32]
	v_add_f64 v[31:32], v[31:32], v[35:36]
	;; [unrolled: 1-line block ×3, first 2 shown]
	v_add_f64 v[33:34], v[27:28], -v[33:34]
	v_add_f64 v[23:24], v[23:24], v[35:36]
	v_add_f64 v[35:36], v[37:38], v[214:215]
	v_fma_f64 v[31:32], v[31:32], -0.5, v[206:207]
	v_fma_f64 v[35:36], v[35:36], -0.5, v[196:197]
	v_fma_f64 v[27:28], v[33:34], s[14:15], v[31:32]
	v_fma_f64 v[31:32], v[33:34], s[4:5], v[31:32]
	v_add_f64 v[33:34], v[196:197], v[37:38]
	v_add_f64 v[37:38], v[37:38], -v[214:215]
	v_add_f64 v[33:34], v[33:34], v[214:215]
	s_waitcnt vmcnt(1)
	v_mul_f64 v[2:3], v[188:189], v[166:167]
	v_mul_f64 v[0:1], v[190:191], v[166:167]
	s_waitcnt vmcnt(0)
	v_mul_f64 v[4:5], v[192:193], v[170:171]
	v_fma_f64 v[6:7], v[190:191], v[164:165], v[2:3]
	v_add_f64 v[190:191], v[212:213], -v[216:217]
	v_fma_f64 v[0:1], v[188:189], v[164:165], -v[0:1]
	v_mul_f64 v[2:3], v[194:195], v[170:171]
	v_fma_f64 v[4:5], v[194:195], v[168:169], v[4:5]
	v_fma_f64 v[188:189], v[190:191], s[4:5], v[35:36]
	;; [unrolled: 1-line block ×3, first 2 shown]
	v_add_f64 v[190:191], v[212:213], v[216:217]
	v_fma_f64 v[2:3], v[192:193], v[168:169], -v[2:3]
	v_add_f64 v[194:195], v[6:7], -v[4:5]
	v_add_f64 v[35:36], v[198:199], v[212:213]
	v_fma_f64 v[192:193], v[190:191], -0.5, v[198:199]
	v_add_f64 v[198:199], v[0:1], -v[2:3]
	v_add_f64 v[35:36], v[35:36], v[216:217]
	v_fma_f64 v[190:191], v[37:38], s[14:15], v[192:193]
	v_fma_f64 v[206:207], v[37:38], s[4:5], v[192:193]
	v_add_f64 v[37:38], v[0:1], v[2:3]
	ds_write_b128 v255, v[9:12]
	ds_write_b128 v255, v[13:16] offset:6240
	ds_write_b128 v255, v[17:20] offset:12480
	;; [unrolled: 1-line block ×8, first 2 shown]
	v_fma_f64 v[37:38], v[37:38], -0.5, v[200:201]
	v_fma_f64 v[192:193], v[194:195], s[4:5], v[37:38]
	v_fma_f64 v[196:197], v[194:195], s[14:15], v[37:38]
	v_add_f64 v[37:38], v[6:7], v[4:5]
	v_fma_f64 v[37:38], v[37:38], -0.5, v[202:203]
	v_fma_f64 v[194:195], v[198:199], s[14:15], v[37:38]
	v_fma_f64 v[198:199], v[198:199], s[4:5], v[37:38]
	s_and_saveexec_b64 s[4:5], s[0:1]
	s_cbranch_execz .LBB0_13
; %bb.12:
	v_add_f64 v[6:7], v[202:203], v[6:7]
	v_add_f64 v[0:1], v[200:201], v[0:1]
	;; [unrolled: 1-line block ×4, first 2 shown]
	ds_write_b128 v255, v[192:195] offset:11856
	ds_write_b128 v255, v[2:5] offset:5616
	;; [unrolled: 1-line block ×3, first 2 shown]
.LBB0_13:
	s_or_b64 exec, exec, s[4:5]
	v_lshlrev_b32_e32 v0, 4, v241
	v_add_co_u32_e32 v19, vcc, s12, v0
	v_mov_b32_e32 v0, s13
	v_addc_co_u32_e32 v20, vcc, 0, v0, vcc
	s_movk_i32 s4, 0x4920
	v_add_co_u32_e32 v13, vcc, s4, v19
	v_addc_co_u32_e32 v14, vcc, 0, v20, vcc
	s_movk_i32 s4, 0x4000
	v_add_co_u32_e32 v4, vcc, s4, v19
	v_addc_co_u32_e32 v5, vcc, 0, v20, vcc
	s_waitcnt lgkmcnt(0)
	s_barrier
	global_load_dwordx4 v[4:7], v[4:5], off offset:2336
	ds_read_b128 v[0:3], v255
	s_movk_i32 s4, 0x6000
	v_add_co_u32_e32 v15, vcc, s4, v19
	v_addc_co_u32_e32 v16, vcc, 0, v20, vcc
	s_movk_i32 s4, 0x7000
	v_add_co_u32_e32 v17, vcc, s4, v19
	v_addc_co_u32_e32 v18, vcc, 0, v20, vcc
	s_movk_i32 s4, 0x5000
	s_waitcnt vmcnt(0) lgkmcnt(0)
	v_mul_f64 v[9:10], v[2:3], v[6:7]
	v_fma_f64 v[9:10], v[0:1], v[4:5], -v[9:10]
	v_mul_f64 v[0:1], v[0:1], v[6:7]
	v_fma_f64 v[11:12], v[2:3], v[4:5], v[0:1]
	global_load_dwordx4 v[4:7], v[15:16], off offset:3504
	ds_read_b128 v[0:3], v255 offset:9360
	ds_write_b128 v255, v[9:12]
	s_waitcnt vmcnt(0) lgkmcnt(1)
	v_mul_f64 v[9:10], v[2:3], v[6:7]
	v_fma_f64 v[9:10], v[0:1], v[4:5], -v[9:10]
	v_mul_f64 v[0:1], v[0:1], v[6:7]
	v_fma_f64 v[11:12], v[2:3], v[4:5], v[0:1]
	global_load_dwordx4 v[4:7], v[13:14], off offset:1872
	ds_read_b128 v[0:3], v255 offset:1872
	ds_write_b128 v255, v[9:12] offset:9360
	s_waitcnt vmcnt(0) lgkmcnt(1)
	v_mul_f64 v[9:10], v[2:3], v[6:7]
	v_fma_f64 v[9:10], v[0:1], v[4:5], -v[9:10]
	v_mul_f64 v[0:1], v[0:1], v[6:7]
	v_fma_f64 v[11:12], v[2:3], v[4:5], v[0:1]
	global_load_dwordx4 v[4:7], v[17:18], off offset:1280
	ds_read_b128 v[0:3], v255 offset:11232
	ds_write_b128 v255, v[9:12] offset:1872
	;; [unrolled: 8-line block ×4, first 2 shown]
	s_waitcnt vmcnt(0) lgkmcnt(1)
	v_mul_f64 v[9:10], v[2:3], v[6:7]
	v_fma_f64 v[9:10], v[0:1], v[4:5], -v[9:10]
	v_mul_f64 v[0:1], v[0:1], v[6:7]
	v_fma_f64 v[11:12], v[2:3], v[4:5], v[0:1]
	v_add_co_u32_e32 v4, vcc, s4, v19
	v_addc_co_u32_e32 v5, vcc, 0, v20, vcc
	global_load_dwordx4 v[4:7], v[4:5], off offset:3856
	ds_read_b128 v[0:3], v255 offset:5616
	s_mov_b32 s4, 0x8000
	ds_write_b128 v255, v[9:12] offset:13104
	v_add_co_u32_e32 v13, vcc, s4, v19
	v_addc_co_u32_e32 v14, vcc, 0, v20, vcc
	s_waitcnt vmcnt(0) lgkmcnt(1)
	v_mul_f64 v[9:10], v[2:3], v[6:7]
	v_fma_f64 v[9:10], v[0:1], v[4:5], -v[9:10]
	v_mul_f64 v[0:1], v[0:1], v[6:7]
	v_fma_f64 v[11:12], v[2:3], v[4:5], v[0:1]
	global_load_dwordx4 v[4:7], v[13:14], off offset:928
	ds_read_b128 v[0:3], v255 offset:14976
	ds_write_b128 v255, v[9:12] offset:5616
	s_waitcnt vmcnt(0) lgkmcnt(1)
	v_mul_f64 v[9:10], v[2:3], v[6:7]
	v_fma_f64 v[9:10], v[0:1], v[4:5], -v[9:10]
	v_mul_f64 v[0:1], v[0:1], v[6:7]
	v_fma_f64 v[11:12], v[2:3], v[4:5], v[0:1]
	global_load_dwordx4 v[4:7], v[15:16], off offset:1632
	ds_read_b128 v[0:3], v255 offset:7488
	ds_write_b128 v255, v[9:12] offset:14976
	;; [unrolled: 8-line block ×3, first 2 shown]
	s_waitcnt vmcnt(0) lgkmcnt(1)
	v_mul_f64 v[9:10], v[2:3], v[6:7]
	v_fma_f64 v[9:10], v[0:1], v[4:5], -v[9:10]
	v_mul_f64 v[0:1], v[0:1], v[6:7]
	v_fma_f64 v[11:12], v[2:3], v[4:5], v[0:1]
	ds_write_b128 v255, v[9:12] offset:16848
	s_waitcnt lgkmcnt(0)
	s_barrier
	ds_read_b128 v[0:3], v255
	ds_read_b128 v[4:7], v255 offset:9360
	ds_read_b128 v[9:12], v255 offset:1872
	;; [unrolled: 1-line block ×9, first 2 shown]
	s_waitcnt lgkmcnt(8)
	v_add_f64 v[200:201], v[0:1], -v[4:5]
	s_waitcnt lgkmcnt(0)
	s_barrier
	v_add_f64 v[202:203], v[2:3], -v[6:7]
	v_add_f64 v[204:205], v[9:10], -v[13:14]
	;; [unrolled: 1-line block ×4, first 2 shown]
	v_fma_f64 v[188:189], v[0:1], 2.0, -v[200:201]
	buffer_load_dword v0, off, s[52:55], 0  ; 4-byte Folded Reload
	v_add_f64 v[210:211], v[19:20], -v[23:24]
	v_add_f64 v[220:221], v[25:26], -v[29:30]
	v_fma_f64 v[190:191], v[2:3], 2.0, -v[202:203]
	v_fma_f64 v[216:217], v[9:10], 2.0, -v[204:205]
	;; [unrolled: 1-line block ×4, first 2 shown]
	v_add_f64 v[222:223], v[27:28], -v[31:32]
	v_add_f64 v[228:229], v[33:34], -v[228:229]
	v_fma_f64 v[214:215], v[19:20], 2.0, -v[210:211]
	v_add_f64 v[230:231], v[35:36], -v[230:231]
	v_fma_f64 v[224:225], v[25:26], 2.0, -v[220:221]
	s_waitcnt vmcnt(0)
	ds_write_b128 v0, v[188:191]
	ds_write_b128 v0, v[200:203] offset:16
	buffer_load_dword v0, off, s[52:55], 0 offset:204 ; 4-byte Folded Reload
	v_fma_f64 v[226:227], v[27:28], 2.0, -v[222:223]
	v_fma_f64 v[232:233], v[33:34], 2.0, -v[228:229]
	;; [unrolled: 1-line block ×3, first 2 shown]
	s_waitcnt vmcnt(0)
	ds_write_b128 v0, v[216:219]
	ds_write_b128 v0, v[204:207] offset:16
	buffer_load_dword v0, off, s[52:55], 0 offset:8 ; 4-byte Folded Reload
	s_waitcnt vmcnt(0)
	ds_write_b128 v0, v[212:215]
	ds_write_b128 v0, v[208:211] offset:16
	buffer_load_dword v0, off, s[52:55], 0 offset:212 ; 4-byte Folded Reload
	s_waitcnt vmcnt(0)
	ds_write_b128 v0, v[224:227]
	ds_write_b128 v0, v[220:223] offset:16
	ds_write_b128 v8, v[232:235]
	ds_write_b128 v8, v[228:231] offset:16
	s_waitcnt lgkmcnt(0)
	s_barrier
	s_and_saveexec_b64 s[4:5], s[2:3]
	s_cbranch_execz .LBB0_15
; %bb.14:
	ds_read_b128 v[188:191], v255
	ds_read_b128 v[200:203], v255 offset:1440
	ds_read_b128 v[216:219], v255 offset:2880
	;; [unrolled: 1-line block ×12, first 2 shown]
.LBB0_15:
	s_or_b64 exec, exec, s[4:5]
	s_waitcnt lgkmcnt(11)
	v_mul_f64 v[0:1], v[86:87], v[202:203]
	s_mov_b32 s4, 0x1ea71119
	s_mov_b32 s5, 0x3fe22d96
	;; [unrolled: 1-line block ×7, first 2 shown]
	v_fma_f64 v[236:237], v[84:85], v[200:201], v[0:1]
	v_mul_f64 v[0:1], v[86:87], v[200:201]
	s_mov_b32 s15, 0x3fbedb7d
	s_mov_b32 s20, 0x2ef20147
	;; [unrolled: 1-line block ×7, first 2 shown]
	v_fma_f64 v[249:250], v[84:85], v[202:203], -v[0:1]
	s_waitcnt lgkmcnt(10)
	v_mul_f64 v[0:1], v[70:71], v[218:219]
	s_mov_b32 s22, 0x93053d00
	s_mov_b32 s23, 0xbfef11f4
	;; [unrolled: 1-line block ×7, first 2 shown]
	v_fma_f64 v[84:85], v[68:69], v[216:217], v[0:1]
	v_mul_f64 v[0:1], v[70:71], v[216:217]
	s_mov_b32 s30, 0x4267c47c
	s_mov_b32 s28, 0xe00740e9
	;; [unrolled: 1-line block ×7, first 2 shown]
	v_fma_f64 v[202:203], v[68:69], v[218:219], -v[0:1]
	s_waitcnt lgkmcnt(9)
	v_mul_f64 v[0:1], v[58:59], v[206:207]
	s_mov_b32 s41, 0xbfe5384d
	s_mov_b32 s40, s34
	;; [unrolled: 1-line block ×4, first 2 shown]
	v_fma_f64 v[70:71], v[56:57], v[204:205], v[0:1]
	v_mul_f64 v[0:1], v[58:59], v[204:205]
	v_fma_f64 v[204:205], v[56:57], v[206:207], -v[0:1]
	s_waitcnt lgkmcnt(8)
	v_mul_f64 v[0:1], v[46:47], v[214:215]
	v_fma_f64 v[58:59], v[44:45], v[212:213], v[0:1]
	v_mul_f64 v[0:1], v[46:47], v[212:213]
	v_fma_f64 v[253:254], v[44:45], v[214:215], -v[0:1]
	s_waitcnt lgkmcnt(7)
	v_mul_f64 v[0:1], v[78:79], v[210:211]
	v_fma_f64 v[206:207], v[76:77], v[208:209], v[0:1]
	v_mul_f64 v[0:1], v[78:79], v[208:209]
	v_fma_f64 v[216:217], v[76:77], v[210:211], -v[0:1]
	s_waitcnt lgkmcnt(6)
	v_mul_f64 v[0:1], v[66:67], v[226:227]
	v_fma_f64 v[208:209], v[64:65], v[224:225], v[0:1]
	v_mul_f64 v[0:1], v[66:67], v[224:225]
	v_fma_f64 v[64:65], v[64:65], v[226:227], -v[0:1]
	s_waitcnt lgkmcnt(5)
	v_mul_f64 v[0:1], v[50:51], v[222:223]
	v_fma_f64 v[210:211], v[48:49], v[220:221], v[0:1]
	v_mul_f64 v[0:1], v[50:51], v[220:221]
	v_fma_f64 v[66:67], v[48:49], v[222:223], -v[0:1]
	s_waitcnt lgkmcnt(4)
	v_mul_f64 v[0:1], v[62:63], v[234:235]
	v_fma_f64 v[218:219], v[60:61], v[232:233], v[0:1]
	v_mul_f64 v[0:1], v[62:63], v[232:233]
	v_fma_f64 v[234:235], v[60:61], v[234:235], -v[0:1]
	s_waitcnt lgkmcnt(3)
	v_mul_f64 v[0:1], v[82:83], v[230:231]
	v_fma_f64 v[232:233], v[80:81], v[228:229], v[0:1]
	v_mul_f64 v[0:1], v[82:83], v[228:229]
	v_add_f64 v[239:240], v[58:59], v[232:233]
	v_fma_f64 v[82:83], v[80:81], v[230:231], -v[0:1]
	s_waitcnt lgkmcnt(2)
	v_mul_f64 v[0:1], v[74:75], v[194:195]
	v_add_f64 v[247:248], v[58:59], -v[232:233]
	v_add_f64 v[251:252], v[253:254], -v[82:83]
	v_fma_f64 v[80:81], v[72:73], v[192:193], v[0:1]
	v_mul_f64 v[0:1], v[74:75], v[192:193]
	v_add_f64 v[243:244], v[253:254], v[82:83]
	v_mul_f64 v[68:69], v[251:252], s[16:17]
	v_add_f64 v[220:221], v[70:71], v[80:81]
	v_fma_f64 v[72:73], v[72:73], v[194:195], -v[0:1]
	s_waitcnt lgkmcnt(1)
	v_mul_f64 v[0:1], v[54:55], v[198:199]
	v_add_f64 v[228:229], v[70:71], -v[80:81]
	v_mul_f64 v[56:57], v[243:244], s[14:15]
	v_add_f64 v[224:225], v[204:205], v[72:73]
	v_fma_f64 v[60:61], v[52:53], v[196:197], v[0:1]
	v_mul_f64 v[0:1], v[54:55], v[196:197]
	v_add_f64 v[226:227], v[204:205], -v[72:73]
	v_mul_f64 v[38:39], v[224:225], s[28:29]
	v_add_f64 v[196:197], v[84:85], v[60:61]
	v_fma_f64 v[62:63], v[52:53], v[198:199], -v[0:1]
	s_waitcnt lgkmcnt(0)
	v_mul_f64 v[0:1], v[42:43], v[154:155]
	v_add_f64 v[222:223], v[84:85], -v[60:61]
	v_mul_f64 v[32:33], v[226:227], s[30:31]
	v_add_f64 v[198:199], v[202:203], v[62:63]
	v_fma_f64 v[54:55], v[40:41], v[152:153], v[0:1]
	v_mul_f64 v[0:1], v[42:43], v[152:153]
	v_add_f64 v[214:215], v[202:203], -v[62:63]
	v_mul_f64 v[18:19], v[198:199], s[18:19]
	v_add_f64 v[212:213], v[236:237], -v[54:55]
	v_fma_f64 v[74:75], v[40:41], v[154:155], -v[0:1]
	v_add_f64 v[154:155], v[236:237], v[54:55]
	v_mul_f64 v[24:25], v[198:199], s[24:25]
	v_add_f64 v[192:193], v[249:250], v[74:75]
	v_add_f64 v[194:195], v[249:250], -v[74:75]
	v_mul_f64 v[4:5], v[192:193], s[4:5]
	buffer_store_dword v4, off, s[52:55], 0 offset:16 ; 4-byte Folded Spill
	s_nop 0
	buffer_store_dword v5, off, s[52:55], 0 offset:20 ; 4-byte Folded Spill
	v_mul_f64 v[152:153], v[194:195], s[12:13]
	v_mul_f64 v[8:9], v[192:193], s[14:15]
	;; [unrolled: 1-line block ×3, first 2 shown]
	v_fma_f64 v[0:1], v[154:155], s[4:5], -v[152:153]
	v_add_f64 v[2:3], v[188:189], v[0:1]
	v_fma_f64 v[0:1], v[212:213], s[12:13], v[4:5]
	v_add_f64 v[4:5], v[190:191], v[0:1]
	v_mul_f64 v[0:1], v[194:195], s[16:17]
	buffer_store_dword v0, off, s[52:55], 0 offset:204 ; 4-byte Folded Spill
	s_nop 0
	buffer_store_dword v1, off, s[52:55], 0 offset:208 ; 4-byte Folded Spill
	buffer_store_dword v8, off, s[52:55], 0 offset:236 ; 4-byte Folded Spill
	s_nop 0
	buffer_store_dword v9, off, s[52:55], 0 offset:240 ; 4-byte Folded Spill
	v_fma_f64 v[0:1], v[154:155], s[14:15], -v[0:1]
	v_add_f64 v[6:7], v[188:189], v[0:1]
	v_fma_f64 v[0:1], v[212:213], s[16:17], v[8:9]
	v_add_f64 v[8:9], v[190:191], v[0:1]
	v_mul_f64 v[0:1], v[194:195], s[20:21]
	buffer_store_dword v0, off, s[52:55], 0 offset:252 ; 4-byte Folded Spill
	s_nop 0
	buffer_store_dword v1, off, s[52:55], 0 offset:256 ; 4-byte Folded Spill
	buffer_store_dword v12, off, s[52:55], 0 offset:268 ; 4-byte Folded Spill
	s_nop 0
	buffer_store_dword v13, off, s[52:55], 0 offset:272 ; 4-byte Folded Spill
	;; [unrolled: 3-line block ×3, first 2 shown]
	v_fma_f64 v[10:11], v[154:155], s[18:19], -v[0:1]
	v_mul_f64 v[0:1], v[214:215], s[20:21]
	v_fma_f64 v[12:13], v[212:213], s[20:21], v[12:13]
	v_add_f64 v[10:11], v[188:189], v[10:11]
	v_fma_f64 v[14:15], v[196:197], s[18:19], -v[0:1]
	v_add_f64 v[12:13], v[190:191], v[12:13]
	v_add_f64 v[16:17], v[14:15], v[2:3]
	v_fma_f64 v[2:3], v[222:223], s[20:21], v[18:19]
	v_add_f64 v[18:19], v[2:3], v[4:5]
	v_mul_f64 v[2:3], v[214:215], s[26:27]
	v_mul_f64 v[4:5], v[198:199], s[22:23]
	buffer_store_dword v2, off, s[52:55], 0 offset:276 ; 4-byte Folded Spill
	s_nop 0
	buffer_store_dword v3, off, s[52:55], 0 offset:280 ; 4-byte Folded Spill
	buffer_store_dword v4, off, s[52:55], 0 offset:284 ; 4-byte Folded Spill
	s_nop 0
	buffer_store_dword v5, off, s[52:55], 0 offset:288 ; 4-byte Folded Spill
	v_fma_f64 v[14:15], v[196:197], s[22:23], -v[2:3]
	v_mul_f64 v[2:3], v[226:227], s[26:27]
	v_add_f64 v[6:7], v[14:15], v[6:7]
	v_fma_f64 v[14:15], v[222:223], s[26:27], v[4:5]
	v_mul_f64 v[4:5], v[224:225], s[22:23]
	buffer_store_dword v4, off, s[52:55], 0 offset:260 ; 4-byte Folded Spill
	s_nop 0
	buffer_store_dword v5, off, s[52:55], 0 offset:264 ; 4-byte Folded Spill
	v_add_f64 v[8:9], v[14:15], v[8:9]
	v_mul_f64 v[14:15], v[214:215], s[34:35]
	v_fma_f64 v[20:21], v[196:197], s[24:25], -v[14:15]
	v_add_f64 v[10:11], v[20:21], v[10:11]
	v_fma_f64 v[20:21], v[222:223], s[34:35], v[24:25]
	v_add_f64 v[12:13], v[20:21], v[12:13]
	v_fma_f64 v[20:21], v[220:221], s[22:23], -v[2:3]
	v_add_f64 v[16:17], v[20:21], v[16:17]
	v_fma_f64 v[20:21], v[228:229], s[26:27], v[4:5]
	v_mul_f64 v[4:5], v[251:252], s[30:31]
	buffer_store_dword v4, off, s[52:55], 0 offset:292 ; 4-byte Folded Spill
	s_nop 0
	buffer_store_dword v5, off, s[52:55], 0 offset:296 ; 4-byte Folded Spill
	v_add_f64 v[26:27], v[20:21], v[18:19]
	v_mul_f64 v[18:19], v[226:227], s[38:39]
	v_mul_f64 v[20:21], v[224:225], s[18:19]
	v_fma_f64 v[22:23], v[220:221], s[18:19], -v[18:19]
	v_add_f64 v[6:7], v[22:23], v[6:7]
	v_fma_f64 v[22:23], v[228:229], s[38:39], v[20:21]
	v_add_f64 v[28:29], v[22:23], v[8:9]
	v_fma_f64 v[8:9], v[220:221], s[28:29], -v[32:33]
	v_mul_f64 v[22:23], v[243:244], s[24:25]
	v_add_f64 v[10:11], v[8:9], v[10:11]
	v_fma_f64 v[8:9], v[228:229], s[30:31], v[38:39]
	v_add_f64 v[12:13], v[8:9], v[12:13]
	v_mul_f64 v[8:9], v[251:252], s[34:35]
	v_fma_f64 v[30:31], v[239:240], s[24:25], -v[8:9]
	v_add_f64 v[34:35], v[30:31], v[16:17]
	v_mul_f64 v[30:31], v[243:244], s[28:29]
	buffer_store_dword v30, off, s[52:55], 0 offset:300 ; 4-byte Folded Spill
	s_nop 0
	buffer_store_dword v31, off, s[52:55], 0 offset:304 ; 4-byte Folded Spill
	v_fma_f64 v[16:17], v[247:248], s[34:35], v[22:23]
	v_add_f64 v[26:27], v[16:17], v[26:27]
	v_fma_f64 v[16:17], v[239:240], s[28:29], -v[4:5]
	v_add_f64 v[36:37], v[16:17], v[6:7]
	v_add_f64 v[16:17], v[216:217], -v[234:235]
	v_mul_f64 v[230:231], v[16:17], s[44:45]
	v_fma_f64 v[6:7], v[247:248], s[30:31], v[30:31]
	v_mul_f64 v[30:31], v[16:17], s[42:43]
	v_add_f64 v[28:29], v[6:7], v[28:29]
	v_fma_f64 v[6:7], v[239:240], s[14:15], -v[68:69]
	v_add_f64 v[40:41], v[6:7], v[10:11]
	v_add_f64 v[10:11], v[216:217], v[234:235]
	v_fma_f64 v[6:7], v[247:248], s[16:17], v[56:57]
	v_mul_f64 v[4:5], v[10:11], s[14:15]
	buffer_store_dword v4, off, s[52:55], 0 offset:308 ; 4-byte Folded Spill
	s_nop 0
	buffer_store_dword v5, off, s[52:55], 0 offset:312 ; 4-byte Folded Spill
	v_add_f64 v[42:43], v[6:7], v[12:13]
	v_add_f64 v[6:7], v[206:207], v[218:219]
	v_add_f64 v[12:13], v[206:207], -v[218:219]
	v_mul_f64 v[86:87], v[10:11], s[22:23]
	v_fma_f64 v[44:45], v[6:7], s[14:15], -v[30:31]
	v_add_f64 v[44:45], v[44:45], v[34:35]
	v_fma_f64 v[34:35], v[12:13], s[42:43], v[4:5]
	v_mul_f64 v[4:5], v[10:11], s[4:5]
	v_add_f64 v[46:47], v[34:35], v[26:27]
	v_mul_f64 v[26:27], v[16:17], s[12:13]
	buffer_store_dword v26, off, s[52:55], 0 offset:324 ; 4-byte Folded Spill
	s_nop 0
	buffer_store_dword v27, off, s[52:55], 0 offset:328 ; 4-byte Folded Spill
	v_add_f64 v[34:35], v[208:209], -v[210:211]
	v_fma_f64 v[26:27], v[6:7], s[4:5], -v[26:27]
	v_add_f64 v[48:49], v[26:27], v[36:37]
	v_fma_f64 v[26:27], v[12:13], s[12:13], v[4:5]
	v_add_f64 v[50:51], v[26:27], v[28:29]
	v_add_f64 v[28:29], v[64:65], v[66:67]
	buffer_store_dword v64, off, s[52:55], 0 ; 4-byte Folded Spill
	s_nop 0
	buffer_store_dword v65, off, s[52:55], 0 offset:4 ; 4-byte Folded Spill
	buffer_store_dword v66, off, s[52:55], 0 offset:8 ; 4-byte Folded Spill
	s_nop 0
	buffer_store_dword v67, off, s[52:55], 0 offset:12 ; 4-byte Folded Spill
	v_fma_f64 v[26:27], v[6:7], s[22:23], -v[230:231]
	v_mul_f64 v[200:201], v[28:29], s[28:29]
	v_mul_f64 v[78:79], v[28:29], s[4:5]
	v_add_f64 v[40:41], v[26:27], v[40:41]
	v_fma_f64 v[26:27], v[12:13], s[44:45], v[86:87]
	v_add_f64 v[42:43], v[26:27], v[42:43]
	v_add_f64 v[26:27], v[208:209], v[210:211]
	v_add_f64 v[36:37], v[64:65], -v[66:67]
	v_mul_f64 v[64:65], v[28:29], s[24:25]
	v_mul_f64 v[52:53], v[36:37], s[30:31]
	buffer_store_dword v52, off, s[52:55], 0 offset:316 ; 4-byte Folded Spill
	s_nop 0
	buffer_store_dword v53, off, s[52:55], 0 offset:320 ; 4-byte Folded Spill
	v_mul_f64 v[76:77], v[36:37], s[40:41]
	v_mul_f64 v[66:67], v[36:37], s[46:47]
	s_waitcnt vmcnt(0)
	s_barrier
	v_fma_f64 v[52:53], v[26:27], s[28:29], -v[52:53]
	v_add_f64 v[44:45], v[52:53], v[44:45]
	v_fma_f64 v[52:53], v[34:35], s[30:31], v[200:201]
	v_add_f64 v[46:47], v[52:53], v[46:47]
	v_fma_f64 v[52:53], v[26:27], s[24:25], -v[76:77]
	v_add_f64 v[48:49], v[52:53], v[48:49]
	v_fma_f64 v[52:53], v[34:35], s[40:41], v[64:65]
	v_add_f64 v[50:51], v[52:53], v[50:51]
	;; [unrolled: 4-line block ×3, first 2 shown]
	s_and_saveexec_b64 s[36:37], s[2:3]
	s_cbranch_execz .LBB0_17
; %bb.16:
	v_mul_f64 v[52:53], v[154:155], s[4:5]
	v_mul_f64 v[241:242], v[220:221], s[22:23]
	buffer_store_dword v52, off, s[52:55], 0 offset:524 ; 4-byte Folded Spill
	s_nop 0
	buffer_store_dword v53, off, s[52:55], 0 offset:528 ; 4-byte Folded Spill
	v_mul_f64 v[52:53], v[212:213], s[12:13]
	buffer_store_dword v52, off, s[52:55], 0 offset:540 ; 4-byte Folded Spill
	s_nop 0
	buffer_store_dword v53, off, s[52:55], 0 offset:544 ; 4-byte Folded Spill
	;; [unrolled: 4-line block ×3, first 2 shown]
	buffer_store_dword v60, off, s[52:55], 0 offset:348 ; 4-byte Folded Spill
	s_nop 0
	buffer_store_dword v61, off, s[52:55], 0 offset:352 ; 4-byte Folded Spill
	v_mul_f64 v[52:53], v[196:197], s[18:19]
	buffer_store_dword v62, off, s[52:55], 0 offset:356 ; 4-byte Folded Spill
	s_nop 0
	buffer_store_dword v63, off, s[52:55], 0 offset:360 ; 4-byte Folded Spill
	buffer_store_dword v72, off, s[52:55], 0 offset:364 ; 4-byte Folded Spill
	s_nop 0
	buffer_store_dword v73, off, s[52:55], 0 offset:368 ; 4-byte Folded Spill
	v_mul_f64 v[72:73], v[212:213], s[20:21]
	v_mul_f64 v[62:63], v[154:155], s[18:19]
	;; [unrolled: 1-line block ×3, first 2 shown]
	buffer_store_dword v52, off, s[52:55], 0 offset:508 ; 4-byte Folded Spill
	s_nop 0
	buffer_store_dword v53, off, s[52:55], 0 offset:512 ; 4-byte Folded Spill
	v_mul_f64 v[52:53], v[222:223], s[20:21]
	buffer_store_dword v52, off, s[52:55], 0 offset:548 ; 4-byte Folded Spill
	s_nop 0
	buffer_store_dword v53, off, s[52:55], 0 offset:552 ; 4-byte Folded Spill
	v_mul_f64 v[52:53], v[196:197], s[22:23]
	buffer_store_dword v52, off, s[52:55], 0 offset:572 ; 4-byte Folded Spill
	s_nop 0
	buffer_store_dword v53, off, s[52:55], 0 offset:576 ; 4-byte Folded Spill
	buffer_store_dword v74, off, s[52:55], 0 offset:372 ; 4-byte Folded Spill
	s_nop 0
	buffer_store_dword v75, off, s[52:55], 0 offset:376 ; 4-byte Folded Spill
	;; [unrolled: 3-line block ×5, first 2 shown]
	v_mul_f64 v[54:55], v[212:213], s[26:27]
	v_mul_f64 v[202:203], v[194:195], s[26:27]
	buffer_store_dword v204, off, s[52:55], 0 offset:436 ; 4-byte Folded Spill
	s_nop 0
	buffer_store_dword v205, off, s[52:55], 0 offset:440 ; 4-byte Folded Spill
	buffer_store_dword v208, off, s[52:55], 0 offset:428 ; 4-byte Folded Spill
	s_nop 0
	buffer_store_dword v209, off, s[52:55], 0 offset:432 ; 4-byte Folded Spill
	buffer_store_dword v241, off, s[52:55], 0 offset:492 ; 4-byte Folded Spill
	s_nop 0
	buffer_store_dword v242, off, s[52:55], 0 offset:496 ; 4-byte Folded Spill
	buffer_store_dword v82, off, s[52:55], 0 offset:404 ; 4-byte Folded Spill
	s_nop 0
	buffer_store_dword v83, off, s[52:55], 0 offset:408 ; 4-byte Folded Spill
	buffer_store_dword v210, off, s[52:55], 0 offset:420 ; 4-byte Folded Spill
	s_nop 0
	buffer_store_dword v211, off, s[52:55], 0 offset:424 ; 4-byte Folded Spill
	buffer_store_dword v234, off, s[52:55], 0 offset:412 ; 4-byte Folded Spill
	s_nop 0
	buffer_store_dword v235, off, s[52:55], 0 offset:416 ; 4-byte Folded Spill
	v_mul_f64 v[210:211], v[222:223], s[30:31]
	v_fma_f64 v[234:235], v[192:193], s[22:23], v[54:55]
	v_mul_f64 v[241:242], v[214:215], s[30:31]
	buffer_store_dword v245, off, s[52:55], 0 offset:332 ; 4-byte Folded Spill
	v_fma_f64 v[245:246], v[154:155], s[22:23], -v[202:203]
	buffer_store_dword v238, off, s[52:55], 0 offset:340 ; 4-byte Folded Spill
	buffer_store_dword v152, off, s[52:55], 0 offset:564 ; 4-byte Folded Spill
	s_nop 0
	buffer_store_dword v153, off, s[52:55], 0 offset:568 ; 4-byte Folded Spill
	buffer_store_dword v249, off, s[52:55], 0 offset:516 ; 4-byte Folded Spill
	s_nop 0
	;; [unrolled: 3-line block ×6, first 2 shown]
	buffer_store_dword v1, off, s[52:55], 0 offset:560 ; 4-byte Folded Spill
	v_mul_f64 v[80:81], v[228:229], s[40:41]
	v_fma_f64 v[54:55], v[192:193], s[22:23], -v[54:55]
	v_fma_f64 v[253:254], v[198:199], s[28:29], v[210:211]
	v_add_f64 v[234:235], v[190:191], v[234:235]
	v_fma_f64 v[206:207], v[196:197], s[28:29], -v[241:242]
	v_add_f64 v[245:246], v[188:189], v[245:246]
	v_mul_f64 v[0:1], v[226:227], s[40:41]
	v_fma_f64 v[202:203], v[154:155], s[22:23], v[202:203]
	buffer_store_dword v2, off, s[52:55], 0 offset:532 ; 4-byte Folded Spill
	s_nop 0
	buffer_store_dword v3, off, s[52:55], 0 offset:536 ; 4-byte Folded Spill
	v_mul_f64 v[249:250], v[247:248], s[46:47]
	v_fma_f64 v[210:211], v[198:199], s[28:29], -v[210:211]
	v_add_f64 v[54:55], v[190:191], v[54:55]
	v_fma_f64 v[2:3], v[224:225], s[24:25], v[80:81]
	v_add_f64 v[234:235], v[253:254], v[234:235]
	v_mul_f64 v[253:254], v[251:252], s[46:47]
	v_add_f64 v[206:207], v[206:207], v[245:246]
	v_fma_f64 v[241:242], v[196:197], s[28:29], v[241:242]
	v_add_f64 v[202:203], v[188:189], v[202:203]
	v_fma_f64 v[245:246], v[220:221], s[24:25], -v[0:1]
	v_mul_f64 v[204:205], v[12:13], s[20:21]
	v_add_f64 v[54:55], v[210:211], v[54:55]
	v_fma_f64 v[210:211], v[243:244], s[4:5], v[249:250]
	v_fma_f64 v[80:81], v[224:225], s[24:25], -v[80:81]
	v_add_f64 v[2:3], v[2:3], v[234:235]
	v_mul_f64 v[234:235], v[16:17], s[20:21]
	v_fma_f64 v[0:1], v[220:221], s[24:25], v[0:1]
	v_add_f64 v[202:203], v[241:242], v[202:203]
	v_fma_f64 v[241:242], v[239:240], s[4:5], -v[253:254]
	v_add_f64 v[206:207], v[245:246], v[206:207]
	v_mul_f64 v[52:53], v[34:35], s[42:43]
	v_fma_f64 v[152:153], v[10:11], s[18:19], v[204:205]
	v_fma_f64 v[245:246], v[243:244], s[4:5], -v[249:250]
	v_add_f64 v[54:55], v[80:81], v[54:55]
	v_add_f64 v[2:3], v[210:211], v[2:3]
	v_mul_f64 v[80:81], v[36:37], s[42:43]
	v_fma_f64 v[210:211], v[239:240], s[4:5], v[253:254]
	v_add_f64 v[0:1], v[0:1], v[202:203]
	v_fma_f64 v[202:203], v[6:7], s[18:19], -v[234:235]
	v_add_f64 v[206:207], v[241:242], v[206:207]
	v_fma_f64 v[82:83], v[28:29], s[14:15], v[52:53]
	v_fma_f64 v[204:205], v[10:11], s[18:19], -v[204:205]
	v_add_f64 v[54:55], v[245:246], v[54:55]
	v_add_f64 v[2:3], v[152:153], v[2:3]
	v_fma_f64 v[234:235], v[6:7], s[18:19], v[234:235]
	v_add_f64 v[0:1], v[210:211], v[0:1]
	v_fma_f64 v[210:211], v[26:27], s[14:15], -v[80:81]
	v_add_f64 v[202:203], v[202:203], v[206:207]
	v_fma_f64 v[206:207], v[28:29], s[14:15], -v[52:53]
	v_fma_f64 v[80:81], v[26:27], s[14:15], v[80:81]
	v_add_f64 v[204:205], v[204:205], v[54:55]
	v_add_f64 v[54:55], v[82:83], v[2:3]
	v_mul_f64 v[2:3], v[194:195], s[40:41]
	v_add_f64 v[0:1], v[234:235], v[0:1]
	v_mul_f64 v[152:153], v[212:213], s[40:41]
	v_add_f64 v[52:53], v[210:211], v[202:203]
	buffer_store_dword v52, off, s[52:55], 0 offset:444 ; 4-byte Folded Spill
	s_nop 0
	buffer_store_dword v53, off, s[52:55], 0 offset:448 ; 4-byte Folded Spill
	buffer_store_dword v54, off, s[52:55], 0 offset:452 ; 4-byte Folded Spill
	;; [unrolled: 1-line block ×3, first 2 shown]
	v_add_f64 v[52:53], v[80:81], v[0:1]
	v_mul_f64 v[0:1], v[214:215], s[42:43]
	v_fma_f64 v[80:81], v[154:155], s[24:25], -v[2:3]
	v_fma_f64 v[2:3], v[154:155], s[24:25], v[2:3]
	v_add_f64 v[54:55], v[206:207], v[204:205]
	buffer_store_dword v52, off, s[52:55], 0 offset:468 ; 4-byte Folded Spill
	s_nop 0
	buffer_store_dword v53, off, s[52:55], 0 offset:472 ; 4-byte Folded Spill
	buffer_store_dword v54, off, s[52:55], 0 offset:476 ; 4-byte Folded Spill
	;; [unrolled: 1-line block ×3, first 2 shown]
	v_fma_f64 v[249:250], v[196:197], s[14:15], -v[0:1]
	v_fma_f64 v[0:1], v[196:197], s[14:15], v[0:1]
	v_add_f64 v[2:3], v[188:189], v[2:3]
	v_mov_b32_e32 v55, v31
	v_mov_b32_e32 v54, v30
	;; [unrolled: 1-line block ×4, first 2 shown]
	v_mul_f64 v[241:242], v[222:223], s[42:43]
	v_fma_f64 v[245:246], v[192:193], s[24:25], v[152:153]
	v_fma_f64 v[152:153], v[192:193], s[24:25], -v[152:153]
	v_add_f64 v[0:1], v[0:1], v[2:3]
	v_mul_f64 v[2:3], v[228:229], s[26:27]
	buffer_store_dword v2, off, s[52:55], 0 offset:596 ; 4-byte Folded Spill
	s_nop 0
	buffer_store_dword v3, off, s[52:55], 0 offset:600 ; 4-byte Folded Spill
	buffer_store_dword v8, off, s[52:55], 0 offset:588 ; 4-byte Folded Spill
	s_nop 0
	buffer_store_dword v9, off, s[52:55], 0 offset:592 ; 4-byte Folded Spill
	buffer_load_dword v8, off, s[52:55], 0 offset:268 ; 4-byte Folded Reload
	s_nop 0
	buffer_load_dword v9, off, s[52:55], 0 offset:272 ; 4-byte Folded Reload
	v_mul_f64 v[82:83], v[228:229], s[12:13]
	v_fma_f64 v[210:211], v[198:199], s[14:15], v[241:242]
	v_add_f64 v[234:235], v[190:191], v[245:246]
	v_fma_f64 v[241:242], v[198:199], s[14:15], -v[241:242]
	v_add_f64 v[152:153], v[190:191], v[152:153]
	v_mul_f64 v[206:207], v[247:248], s[44:45]
	v_add_f64 v[80:81], v[188:189], v[80:81]
	v_mul_f64 v[74:75], v[222:223], s[26:27]
	v_fma_f64 v[245:246], v[224:225], s[4:5], v[82:83]
	v_fma_f64 v[82:83], v[224:225], s[4:5], -v[82:83]
	v_add_f64 v[210:211], v[210:211], v[234:235]
	v_mul_f64 v[234:235], v[226:227], s[12:13]
	v_add_f64 v[152:153], v[241:242], v[152:153]
	v_mul_f64 v[241:242], v[251:252], s[44:45]
	;; [unrolled: 2-line block ×3, first 2 shown]
	v_mul_f64 v[253:254], v[12:13], s[30:31]
	v_mov_b32_e32 v205, v59
	v_add_f64 v[210:211], v[245:246], v[210:211]
	v_fma_f64 v[245:246], v[243:244], s[22:23], v[206:207]
	v_fma_f64 v[249:250], v[220:221], s[4:5], -v[234:235]
	v_fma_f64 v[2:3], v[220:221], s[4:5], v[234:235]
	v_add_f64 v[82:83], v[82:83], v[152:153]
	v_fma_f64 v[206:207], v[243:244], s[22:23], -v[206:207]
	v_mul_f64 v[152:153], v[16:17], s[30:31]
	v_fma_f64 v[234:235], v[10:11], s[28:29], v[253:254]
	v_add_f64 v[14:15], v[232:233], v[14:15]
	v_add_f64 v[210:211], v[245:246], v[210:211]
	;; [unrolled: 1-line block ×3, first 2 shown]
	v_fma_f64 v[245:246], v[239:240], s[22:23], -v[241:242]
	v_add_f64 v[0:1], v[2:3], v[0:1]
	v_fma_f64 v[241:242], v[239:240], s[22:23], v[241:242]
	v_add_f64 v[82:83], v[206:207], v[82:83]
	v_mul_f64 v[206:207], v[220:221], s[28:29]
	v_mov_b32_e32 v204, v58
	v_mul_f64 v[58:59], v[34:35], s[20:21]
	v_mul_f64 v[2:3], v[220:221], s[18:19]
	v_add_f64 v[80:81], v[245:246], v[80:81]
	v_fma_f64 v[245:246], v[6:7], s[28:29], -v[152:153]
	v_add_f64 v[0:1], v[241:242], v[0:1]
	v_mul_f64 v[241:242], v[228:229], s[30:31]
	v_fma_f64 v[152:153], v[6:7], s[28:29], v[152:153]
	v_add_f64 v[32:33], v[206:207], v[32:33]
	v_add_f64 v[210:211], v[234:235], v[210:211]
	v_fma_f64 v[249:250], v[10:11], s[28:29], -v[253:254]
	v_mov_b32_e32 v254, v237
	v_mov_b32_e32 v253, v236
	v_mul_f64 v[236:237], v[12:13], s[12:13]
	v_add_f64 v[38:39], v[38:39], -v[241:242]
	v_add_f64 v[152:153], v[152:153], v[0:1]
	v_mul_f64 v[0:1], v[239:240], s[14:15]
	v_mul_f64 v[241:242], v[247:248], s[16:17]
	v_add_f64 v[30:31], v[2:3], v[30:31]
	v_mul_f64 v[208:209], v[222:223], s[34:35]
	v_mul_f64 v[234:235], v[228:229], s[38:39]
	;; [unrolled: 3-line block ×3, first 2 shown]
	v_add_f64 v[0:1], v[0:1], v[68:69]
	v_add_f64 v[56:57], v[56:57], -v[241:242]
	v_add_f64 v[80:81], v[245:246], v[80:81]
	v_add_f64 v[24:25], v[24:25], -v[208:209]
	v_mul_f64 v[208:209], v[247:248], s[30:31]
	v_add_f64 v[20:21], v[20:21], -v[234:235]
	v_mul_f64 v[245:246], v[247:248], s[34:35]
	v_mul_f64 v[234:235], v[26:27], s[24:25]
	v_mov_b32_e32 v203, v195
	v_mov_b32_e32 v202, v194
	;; [unrolled: 1-line block ×4, first 2 shown]
	v_mul_f64 v[22:23], v[34:35], s[30:31]
	s_mov_b32 s31, 0xbfddbe06
	v_mul_f64 v[16:17], v[16:17], s[40:41]
	v_add_f64 v[22:23], v[200:201], -v[22:23]
	s_waitcnt vmcnt(0)
	v_add_f64 v[72:73], v[8:9], -v[72:73]
	v_mul_f64 v[8:9], v[239:240], s[24:25]
	buffer_store_dword v8, off, s[52:55], 0 offset:268 ; 4-byte Folded Spill
	s_nop 0
	buffer_store_dword v9, off, s[52:55], 0 offset:272 ; 4-byte Folded Spill
	buffer_load_dword v8, off, s[52:55], 0 offset:252 ; 4-byte Folded Reload
	s_nop 0
	buffer_load_dword v9, off, s[52:55], 0 offset:256 ; 4-byte Folded Reload
	v_add_f64 v[72:73], v[190:191], v[72:73]
	v_add_f64 v[24:25], v[24:25], v[72:73]
	v_mul_f64 v[72:73], v[12:13], s[42:43]
	v_add_f64 v[24:25], v[38:39], v[24:25]
	v_mul_f64 v[38:39], v[34:35], s[46:47]
	v_add_f64 v[24:25], v[56:57], v[24:25]
	v_add_f64 v[38:39], v[78:79], -v[38:39]
	s_waitcnt vmcnt(0)
	v_add_f64 v[62:63], v[62:63], v[8:9]
	v_mul_f64 v[8:9], v[6:7], s[14:15]
	buffer_store_dword v8, off, s[52:55], 0 offset:252 ; 4-byte Folded Spill
	s_nop 0
	buffer_store_dword v9, off, s[52:55], 0 offset:256 ; 4-byte Folded Spill
	buffer_load_dword v8, off, s[52:55], 0 offset:236 ; 4-byte Folded Reload
	s_nop 0
	buffer_load_dword v9, off, s[52:55], 0 offset:240 ; 4-byte Folded Reload
	s_nop 0
	buffer_store_dword v84, off, s[52:55], 0 offset:236 ; 4-byte Folded Spill
	s_nop 0
	buffer_store_dword v85, off, s[52:55], 0 offset:240 ; 4-byte Folded Spill
	v_add_f64 v[62:63], v[188:189], v[62:63]
	v_mul_f64 v[84:85], v[6:7], s[22:23]
	v_add_f64 v[14:15], v[14:15], v[62:63]
	v_add_f64 v[56:57], v[84:85], v[230:231]
	v_mul_f64 v[62:63], v[26:27], s[28:29]
	v_add_f64 v[14:15], v[32:33], v[14:15]
	v_add_f64 v[0:1], v[0:1], v[14:15]
	v_add_f64 v[14:15], v[4:5], -v[236:237]
	v_add_f64 v[56:57], v[56:57], v[0:1]
	s_waitcnt vmcnt(2)
	v_add_f64 v[60:61], v[8:9], -v[60:61]
	buffer_load_dword v8, off, s[52:55], 0 offset:204 ; 4-byte Folded Reload
	buffer_load_dword v9, off, s[52:55], 0 offset:208 ; 4-byte Folded Reload
	;; [unrolled: 1-line block ×6, first 2 shown]
	v_add_f64 v[60:61], v[190:191], v[60:61]
	s_waitcnt vmcnt(2)
	v_add_f64 v[206:207], v[52:53], v[8:9]
	s_waitcnt vmcnt(0)
	v_add_f64 v[74:75], v[18:19], -v[74:75]
	buffer_load_dword v18, off, s[52:55], 0 offset:276 ; 4-byte Folded Reload
	buffer_load_dword v19, off, s[52:55], 0 offset:280 ; 4-byte Folded Reload
	;; [unrolled: 1-line block ×4, first 2 shown]
	s_nop 0
	buffer_store_dword v218, off, s[52:55], 0 offset:204 ; 4-byte Folded Spill
	s_nop 0
	buffer_store_dword v219, off, s[52:55], 0 offset:208 ; 4-byte Folded Spill
	buffer_load_dword v238, off, s[52:55], 0 offset:340 ; 4-byte Folded Reload
	buffer_load_dword v241, off, s[52:55], 0 offset:24 ; 4-byte Folded Reload
	;; [unrolled: 1-line block ×4, first 2 shown]
	v_mov_b32_e32 v8, v70
	v_mov_b32_e32 v9, v71
	v_add_f64 v[206:207], v[188:189], v[206:207]
	v_add_f64 v[60:61], v[74:75], v[60:61]
	v_fma_f64 v[74:75], v[28:29], s[18:19], v[58:59]
	v_mul_f64 v[70:71], v[12:13], s[44:45]
	v_mov_b32_e32 v218, v90
	v_mov_b32_e32 v219, v91
	v_mul_f64 v[90:91], v[34:35], s[40:41]
	v_mul_f64 v[12:13], v[12:13], s[40:41]
	;; [unrolled: 1-line block ×3, first 2 shown]
	v_add_f64 v[20:21], v[20:21], v[60:61]
	v_add_f64 v[2:3], v[74:75], v[210:211]
	v_fma_f64 v[74:75], v[28:29], s[18:19], -v[58:59]
	buffer_load_dword v58, off, s[52:55], 0 offset:292 ; 4-byte Folded Reload
	buffer_load_dword v59, off, s[52:55], 0 offset:296 ; 4-byte Folded Reload
	;; [unrolled: 1-line block ×4, first 2 shown]
	s_waitcnt vmcnt(10)
	v_add_f64 v[18:19], v[52:53], v[18:19]
	v_mov_b32_e32 v52, v216
	v_mov_b32_e32 v53, v217
	s_waitcnt vmcnt(4)
	v_add_f64 v[32:33], v[32:33], -v[208:209]
	v_mov_b32_e32 v216, v88
	v_mov_b32_e32 v217, v89
	v_mul_f64 v[88:89], v[36:37], s[20:21]
	v_mul_f64 v[36:37], v[36:37], s[26:27]
	v_add_f64 v[18:19], v[18:19], v[206:207]
	v_mul_f64 v[206:207], v[26:27], s[4:5]
	v_add_f64 v[20:21], v[32:33], v[20:21]
	v_fma_f64 v[68:69], v[26:27], s[18:19], -v[88:89]
	v_fma_f64 v[88:89], v[26:27], s[18:19], v[88:89]
	v_add_f64 v[18:19], v[30:31], v[18:19]
	v_add_f64 v[30:31], v[86:87], -v[70:71]
	s_waitcnt vmcnt(2)
	v_add_f64 v[60:61], v[249:250], v[58:59]
	s_waitcnt vmcnt(0)
	v_add_f64 v[32:33], v[232:233], v[4:5]
	v_add_f64 v[14:15], v[14:15], v[20:21]
	;; [unrolled: 1-line block ×5, first 2 shown]
	v_mul_f64 v[82:83], v[226:227], s[16:17]
	v_add_f64 v[24:25], v[30:31], v[24:25]
	v_add_f64 v[18:19], v[60:61], v[18:19]
	v_add_f64 v[60:61], v[64:65], -v[90:91]
	v_add_f64 v[30:31], v[206:207], v[66:67]
	v_add_f64 v[64:65], v[234:235], v[76:77]
	v_mov_b32_e32 v91, v219
	v_mov_b32_e32 v90, v218
	v_add_f64 v[58:59], v[38:39], v[24:25]
	v_add_f64 v[32:33], v[32:33], v[18:19]
	buffer_load_dword v4, off, s[52:55], 0 offset:16 ; 4-byte Folded Reload
	buffer_load_dword v5, off, s[52:55], 0 offset:20 ; 4-byte Folded Reload
	;; [unrolled: 1-line block ×4, first 2 shown]
	v_add_f64 v[66:67], v[60:61], v[14:15]
	v_add_f64 v[56:57], v[30:31], v[56:57]
	;; [unrolled: 1-line block ×3, first 2 shown]
	v_mul_f64 v[32:33], v[212:213], s[30:31]
	v_fma_f64 v[70:71], v[192:193], s[28:29], v[32:33]
	v_fma_f64 v[32:33], v[192:193], s[28:29], -v[32:33]
	v_add_f64 v[70:71], v[190:191], v[70:71]
	v_add_f64 v[32:33], v[190:191], v[32:33]
	s_waitcnt vmcnt(0)
	v_add_f64 v[68:69], v[4:5], -v[18:19]
	buffer_load_dword v4, off, s[52:55], 0 offset:212 ; 4-byte Folded Reload
	buffer_load_dword v5, off, s[52:55], 0 offset:216 ; 4-byte Folded Reload
	;; [unrolled: 1-line block ×4, first 2 shown]
	v_add_f64 v[18:19], v[88:89], v[152:153]
	v_mov_b32_e32 v89, v217
	v_mov_b32_e32 v88, v216
	v_add_f64 v[30:31], v[190:191], v[68:69]
	s_waitcnt vmcnt(0)
	v_add_f64 v[14:15], v[4:5], -v[14:15]
	buffer_load_dword v4, off, s[52:55], 0 offset:524 ; 4-byte Folded Reload
	buffer_load_dword v5, off, s[52:55], 0 offset:528 ; 4-byte Folded Reload
	;; [unrolled: 1-line block ×4, first 2 shown]
	v_add_f64 v[14:15], v[14:15], v[30:31]
	v_add_f64 v[30:31], v[194:195], -v[245:246]
	s_waitcnt vmcnt(0)
	v_add_f64 v[24:25], v[4:5], v[24:25]
	buffer_load_dword v4, off, s[52:55], 0 offset:308 ; 4-byte Folded Reload
	buffer_load_dword v5, off, s[52:55], 0 offset:312 ; 4-byte Folded Reload
	v_add_f64 v[24:25], v[188:189], v[24:25]
	s_waitcnt vmcnt(0)
	v_add_f64 v[38:39], v[4:5], -v[72:73]
	buffer_load_dword v4, off, s[52:55], 0 offset:260 ; 4-byte Folded Reload
	buffer_load_dword v5, off, s[52:55], 0 offset:264 ; 4-byte Folded Reload
	;; [unrolled: 1-line block ×4, first 2 shown]
	s_waitcnt vmcnt(0)
	v_add_f64 v[4:5], v[4:5], -v[60:61]
	buffer_load_dword v60, off, s[52:55], 0 offset:508 ; 4-byte Folded Reload
	buffer_load_dword v61, off, s[52:55], 0 offset:512 ; 4-byte Folded Reload
	buffer_load_dword v68, off, s[52:55], 0 offset:556 ; 4-byte Folded Reload
	buffer_load_dword v69, off, s[52:55], 0 offset:560 ; 4-byte Folded Reload
	buffer_load_dword v245, off, s[52:55], 0 offset:332 ; 4-byte Folded Reload
	buffer_load_dword v72, off, s[52:55], 0 offset:516 ; 4-byte Folded Reload
	buffer_load_dword v73, off, s[52:55], 0 offset:520 ; 4-byte Folded Reload
	buffer_load_dword v76, off, s[52:55], 0 offset:492 ; 4-byte Folded Reload
	buffer_load_dword v77, off, s[52:55], 0 offset:496 ; 4-byte Folded Reload
	buffer_load_dword v78, off, s[52:55], 0 offset:532 ; 4-byte Folded Reload
	buffer_load_dword v79, off, s[52:55], 0 offset:536 ; 4-byte Folded Reload
	v_add_f64 v[4:5], v[4:5], v[14:15]
	v_mul_f64 v[14:15], v[228:229], s[16:17]
	v_add_f64 v[4:5], v[30:31], v[4:5]
	v_mul_f64 v[30:31], v[247:248], s[20:21]
	v_add_f64 v[4:5], v[38:39], v[4:5]
	s_waitcnt vmcnt(7)
	v_add_f64 v[60:61], v[60:61], v[68:69]
	v_mul_f64 v[68:69], v[222:223], s[12:13]
	s_waitcnt vmcnt(4)
	v_add_f64 v[72:73], v[190:191], v[72:73]
	s_waitcnt vmcnt(0)
	v_add_f64 v[76:77], v[76:77], v[78:79]
	buffer_load_dword v78, off, s[52:55], 0 offset:460 ; 4-byte Folded Reload
	buffer_load_dword v79, off, s[52:55], 0 offset:464 ; 4-byte Folded Reload
	v_add_f64 v[24:25], v[60:61], v[24:25]
	v_fma_f64 v[60:61], v[198:199], s[4:5], v[68:69]
	v_fma_f64 v[68:69], v[198:199], s[4:5], -v[68:69]
	v_add_f64 v[24:25], v[76:77], v[24:25]
	v_add_f64 v[60:61], v[60:61], v[70:71]
	v_fma_f64 v[76:77], v[224:225], s[14:15], v[14:15]
	v_fma_f64 v[14:15], v[224:225], s[14:15], -v[14:15]
	v_add_f64 v[32:33], v[68:69], v[32:33]
	v_fma_f64 v[68:69], v[220:221], s[14:15], v[82:83]
	v_fma_f64 v[82:83], v[220:221], s[14:15], -v[82:83]
	v_add_f64 v[60:61], v[76:77], v[60:61]
	v_mul_f64 v[76:77], v[251:252], s[20:21]
	v_add_f64 v[14:15], v[14:15], v[32:33]
	v_fma_f64 v[32:33], v[239:240], s[18:19], v[76:77]
	v_fma_f64 v[76:77], v[239:240], s[18:19], -v[76:77]
	s_waitcnt vmcnt(0)
	v_add_f64 v[72:73], v[72:73], v[78:79]
	buffer_load_dword v78, off, s[52:55], 0 offset:236 ; 4-byte Folded Reload
	buffer_load_dword v79, off, s[52:55], 0 offset:240 ; 4-byte Folded Reload
	s_waitcnt vmcnt(0)
	v_add_f64 v[74:75], v[74:75], v[78:79]
	buffer_load_dword v78, off, s[52:55], 0 offset:588 ; 4-byte Folded Reload
	buffer_load_dword v79, off, s[52:55], 0 offset:592 ; 4-byte Folded Reload
	;; [unrolled: 1-line block ×6, first 2 shown]
	s_waitcnt vmcnt(2)
	v_add_f64 v[78:79], v[80:81], v[78:79]
	s_waitcnt vmcnt(0)
	v_add_f64 v[70:71], v[72:73], v[70:71]
	v_add_f64 v[72:73], v[74:75], v[8:9]
	buffer_load_dword v8, off, s[52:55], 0 offset:252 ; 4-byte Folded Reload
	buffer_load_dword v9, off, s[52:55], 0 offset:256 ; 4-byte Folded Reload
	v_fma_f64 v[74:75], v[243:244], s[18:19], v[30:31]
	v_fma_f64 v[30:31], v[243:244], s[18:19], -v[30:31]
	v_add_f64 v[24:25], v[78:79], v[24:25]
	v_mul_f64 v[78:79], v[214:215], s[12:13]
	v_add_f64 v[72:73], v[72:73], v[204:205]
	v_add_f64 v[60:61], v[74:75], v[60:61]
	v_mul_f64 v[74:75], v[202:203], s[30:31]
	v_fma_f64 v[84:85], v[196:197], s[4:5], v[78:79]
	v_fma_f64 v[78:79], v[196:197], s[4:5], -v[78:79]
	v_fma_f64 v[80:81], v[154:155], s[28:29], v[74:75]
	v_fma_f64 v[74:75], v[154:155], s[28:29], -v[74:75]
	v_add_f64 v[80:81], v[188:189], v[80:81]
	v_add_f64 v[74:75], v[188:189], v[74:75]
	;; [unrolled: 1-line block ×7, first 2 shown]
	s_waitcnt vmcnt(0)
	v_add_f64 v[8:9], v[8:9], v[54:55]
	buffer_load_dword v54, off, s[52:55], 0 offset:500 ; 4-byte Folded Reload
	buffer_load_dword v55, off, s[52:55], 0 offset:504 ; 4-byte Folded Reload
	;; [unrolled: 1-line block ×4, first 2 shown]
	v_add_f64 v[24:25], v[8:9], v[24:25]
	v_fma_f64 v[8:9], v[10:11], s[24:25], v[12:13]
	v_fma_f64 v[10:11], v[10:11], s[24:25], -v[12:13]
	v_add_f64 v[12:13], v[30:31], v[14:15]
	v_fma_f64 v[14:15], v[6:7], s[24:25], v[16:17]
	v_fma_f64 v[6:7], v[6:7], s[24:25], -v[16:17]
	v_add_f64 v[16:17], v[76:77], v[74:75]
	v_add_f64 v[60:61], v[8:9], v[60:61]
	;; [unrolled: 1-line block ×6, first 2 shown]
	s_waitcnt vmcnt(2)
	v_add_f64 v[70:71], v[70:71], v[54:55]
	s_waitcnt vmcnt(0)
	v_add_f64 v[38:39], v[62:63], v[38:39]
	v_fma_f64 v[62:63], v[28:29], s[22:23], v[34:35]
	v_fma_f64 v[28:29], v[28:29], s[22:23], -v[34:35]
	v_fma_f64 v[34:35], v[26:27], s[22:23], v[36:37]
	v_fma_f64 v[26:27], v[26:27], s[22:23], -v[36:37]
	v_add_f64 v[70:71], v[70:71], v[52:53]
	buffer_load_dword v52, off, s[52:55], 0 offset:484 ; 4-byte Folded Reload
	buffer_load_dword v53, off, s[52:55], 0 offset:488 ; 4-byte Folded Reload
	v_add_f64 v[10:11], v[28:29], v[10:11]
	v_add_f64 v[8:9], v[34:35], v[32:33]
	v_add_f64 v[22:23], v[26:27], v[16:17]
	s_waitcnt vmcnt(0)
	v_add_f64 v[72:73], v[72:73], v[52:53]
	buffer_load_dword v52, off, s[52:55], 0 ; 4-byte Folded Reload
	buffer_load_dword v53, off, s[52:55], 0 offset:4 ; 4-byte Folded Reload
	s_waitcnt vmcnt(0)
	v_add_f64 v[70:71], v[70:71], v[52:53]
	buffer_load_dword v52, off, s[52:55], 0 offset:428 ; 4-byte Folded Reload
	buffer_load_dword v53, off, s[52:55], 0 offset:432 ; 4-byte Folded Reload
	s_waitcnt vmcnt(0)
	v_add_f64 v[72:73], v[72:73], v[52:53]
	buffer_load_dword v52, off, s[52:55], 0 offset:8 ; 4-byte Folded Reload
	;; [unrolled: 4-line block ×7, first 2 shown]
	buffer_load_dword v53, off, s[52:55], 0 offset:392 ; 4-byte Folded Reload
	buffer_load_dword v30, off, s[52:55], 0 offset:364 ; 4-byte Folded Reload
	;; [unrolled: 1-line block ×3, first 2 shown]
	s_waitcnt vmcnt(2)
	v_add_f64 v[72:73], v[72:73], v[52:53]
	buffer_load_dword v52, off, s[52:55], 0 offset:396 ; 4-byte Folded Reload
	buffer_load_dword v53, off, s[52:55], 0 offset:400 ; 4-byte Folded Reload
	;; [unrolled: 1-line block ×4, first 2 shown]
	s_waitcnt vmcnt(4)
	v_add_f64 v[30:31], v[70:71], v[30:31]
	s_waitcnt vmcnt(2)
	v_add_f64 v[70:71], v[72:73], v[52:53]
	;; [unrolled: 2-line block ×3, first 2 shown]
	buffer_load_dword v30, off, s[52:55], 0 offset:348 ; 4-byte Folded Reload
	buffer_load_dword v31, off, s[52:55], 0 offset:352 ; 4-byte Folded Reload
	;; [unrolled: 1-line block ×4, first 2 shown]
	s_waitcnt vmcnt(2)
	v_add_f64 v[30:31], v[70:71], v[30:31]
	s_waitcnt vmcnt(0)
	v_add_f64 v[14:15], v[12:13], v[4:5]
	buffer_load_dword v4, off, s[52:55], 0 offset:380 ; 4-byte Folded Reload
	buffer_load_dword v5, off, s[52:55], 0 offset:384 ; 4-byte Folded Reload
	;; [unrolled: 1-line block ×4, first 2 shown]
	s_waitcnt vmcnt(2)
	v_add_f64 v[12:13], v[30:31], v[4:5]
	v_add_f64 v[4:5], v[38:39], v[24:25]
	s_waitcnt vmcnt(1)
	v_mul_u32_u24_e32 v16, 26, v16
	s_waitcnt vmcnt(0)
	v_or_b32_e32 v16, v16, v17
	v_lshlrev_b32_e32 v16, 4, v16
	ds_write_b128 v16, v[12:15]
	ds_write_b128 v16, v[8:11] offset:32
	ds_write_b128 v16, v[4:7] offset:64
	;; [unrolled: 1-line block ×5, first 2 shown]
	buffer_load_dword v4, off, s[52:55], 0 offset:468 ; 4-byte Folded Reload
	buffer_load_dword v5, off, s[52:55], 0 offset:472 ; 4-byte Folded Reload
	;; [unrolled: 1-line block ×4, first 2 shown]
	v_add_f64 v[24:25], v[62:63], v[60:61]
	s_waitcnt vmcnt(0)
	ds_write_b128 v16, v[4:7] offset:192
	buffer_load_dword v4, off, s[52:55], 0 offset:444 ; 4-byte Folded Reload
	buffer_load_dword v5, off, s[52:55], 0 offset:448 ; 4-byte Folded Reload
	buffer_load_dword v6, off, s[52:55], 0 offset:452 ; 4-byte Folded Reload
	buffer_load_dword v7, off, s[52:55], 0 offset:456 ; 4-byte Folded Reload
	s_waitcnt vmcnt(0)
	ds_write_b128 v16, v[4:7] offset:224
	ds_write_b128 v16, v[0:3] offset:256
	;; [unrolled: 1-line block ×6, first 2 shown]
.LBB0_17:
	s_or_b64 exec, exec, s[36:37]
	s_waitcnt lgkmcnt(0)
	s_barrier
	ds_read_b128 v[60:63], v255
	ds_read_b128 v[56:59], v255 offset:1872
	ds_read_b128 v[76:79], v255 offset:12480
	ds_read_b128 v[68:71], v255 offset:14352
	ds_read_b128 v[84:87], v255 offset:6240
	ds_read_b128 v[52:55], v255 offset:3744
	ds_read_b128 v[80:83], v255 offset:8112
	ds_read_b128 v[72:75], v255 offset:9984
	ds_read_b128 v[64:67], v255 offset:16224
	s_and_saveexec_b64 s[2:3], s[0:1]
	s_cbranch_execz .LBB0_19
; %bb.18:
	ds_read_b128 v[40:43], v255 offset:5616
	ds_read_b128 v[48:51], v255 offset:11856
	;; [unrolled: 1-line block ×3, first 2 shown]
.LBB0_19:
	s_or_b64 exec, exec, s[2:3]
	buffer_load_dword v12, off, s[52:55], 0 offset:220 ; 4-byte Folded Reload
	buffer_load_dword v13, off, s[52:55], 0 offset:224 ; 4-byte Folded Reload
	buffer_load_dword v14, off, s[52:55], 0 offset:228 ; 4-byte Folded Reload
	buffer_load_dword v15, off, s[52:55], 0 offset:232 ; 4-byte Folded Reload
	s_waitcnt lgkmcnt(4)
	v_mul_f64 v[0:1], v[94:95], v[86:87]
	v_mul_f64 v[2:3], v[94:95], v[84:85]
	s_waitcnt lgkmcnt(2)
	v_mul_f64 v[8:9], v[102:103], v[82:83]
	v_mul_f64 v[10:11], v[102:103], v[80:81]
	s_mov_b32 s2, 0xe8584caa
	s_mov_b32 s3, 0xbfebb67a
	;; [unrolled: 1-line block ×4, first 2 shown]
	s_waitcnt lgkmcnt(0)
	v_fma_f64 v[16:17], v[92:93], v[86:87], -v[2:3]
	v_mul_f64 v[2:3], v[98:99], v[68:69]
	v_fma_f64 v[22:23], v[100:101], v[80:81], v[8:9]
	v_fma_f64 v[24:25], v[100:101], v[82:83], -v[10:11]
	v_mul_f64 v[8:9], v[106:107], v[66:67]
	v_mul_f64 v[10:11], v[114:115], v[44:45]
	s_waitcnt vmcnt(0)
	s_barrier
	v_fma_f64 v[30:31], v[96:97], v[70:71], -v[2:3]
	v_mul_f64 v[2:3], v[118:119], v[50:51]
	v_fma_f64 v[38:39], v[104:105], v[64:65], v[8:9]
	v_mul_f64 v[8:9], v[114:115], v[46:47]
	v_mul_f64 v[4:5], v[14:15], v[78:79]
	;; [unrolled: 1-line block ×3, first 2 shown]
	v_fma_f64 v[14:15], v[92:93], v[84:85], v[0:1]
	v_mul_f64 v[0:1], v[98:99], v[70:71]
	v_fma_f64 v[18:19], v[12:13], v[76:77], v[4:5]
	v_mul_f64 v[4:5], v[110:111], v[74:75]
	v_fma_f64 v[20:21], v[12:13], v[78:79], -v[6:7]
	v_mul_f64 v[6:7], v[110:111], v[72:73]
	v_fma_f64 v[26:27], v[96:97], v[68:69], v[0:1]
	v_mul_f64 v[0:1], v[106:107], v[64:65]
	v_add_f64 v[12:13], v[60:61], v[14:15]
	v_fma_f64 v[34:35], v[108:109], v[72:73], v[4:5]
	v_add_f64 v[4:5], v[14:15], v[18:19]
	v_fma_f64 v[36:37], v[108:109], v[74:75], -v[6:7]
	v_mul_f64 v[6:7], v[118:119], v[48:49]
	v_fma_f64 v[64:65], v[104:105], v[66:67], -v[0:1]
	v_fma_f64 v[0:1], v[116:117], v[48:49], v[2:3]
	v_add_f64 v[32:33], v[16:17], -v[20:21]
	v_fma_f64 v[2:3], v[112:113], v[44:45], v[8:9]
	v_add_f64 v[8:9], v[12:13], v[18:19]
	v_fma_f64 v[28:29], v[4:5], -0.5, v[60:61]
	v_fma_f64 v[4:5], v[112:113], v[46:47], -v[10:11]
	v_add_f64 v[10:11], v[16:17], v[20:21]
	v_fma_f64 v[6:7], v[116:117], v[50:51], -v[6:7]
	v_add_f64 v[44:45], v[22:23], v[26:27]
	v_add_f64 v[46:47], v[62:63], v[16:17]
	v_add_f64 v[18:19], v[14:15], -v[18:19]
	v_add_f64 v[50:51], v[24:25], v[30:31]
	v_fma_f64 v[12:13], v[32:33], s[2:3], v[28:29]
	v_fma_f64 v[16:17], v[32:33], s[4:5], v[28:29]
	v_fma_f64 v[48:49], v[10:11], -0.5, v[62:63]
	v_add_f64 v[28:29], v[56:57], v[22:23]
	v_fma_f64 v[32:33], v[44:45], -0.5, v[56:57]
	v_add_f64 v[44:45], v[24:25], -v[30:31]
	v_add_f64 v[10:11], v[46:47], v[20:21]
	v_add_f64 v[46:47], v[58:59], v[24:25]
	v_fma_f64 v[50:51], v[50:51], -0.5, v[58:59]
	v_add_f64 v[56:57], v[22:23], -v[26:27]
	v_fma_f64 v[14:15], v[18:19], s[4:5], v[48:49]
	v_fma_f64 v[18:19], v[18:19], s[2:3], v[48:49]
	v_add_f64 v[48:49], v[52:53], v[34:35]
	v_add_f64 v[20:21], v[28:29], v[26:27]
	v_fma_f64 v[24:25], v[44:45], s[2:3], v[32:33]
	v_fma_f64 v[28:29], v[44:45], s[4:5], v[32:33]
	v_add_f64 v[44:45], v[34:35], v[38:39]
	v_add_f64 v[22:23], v[46:47], v[30:31]
	v_fma_f64 v[26:27], v[56:57], s[4:5], v[50:51]
	v_add_f64 v[46:47], v[36:37], v[64:65]
	v_fma_f64 v[30:31], v[56:57], s[2:3], v[50:51]
	v_add_f64 v[50:51], v[0:1], v[2:3]
	v_add_f64 v[32:33], v[48:49], v[38:39]
	;; [unrolled: 1-line block ×3, first 2 shown]
	v_fma_f64 v[44:45], v[44:45], -0.5, v[52:53]
	v_add_f64 v[52:53], v[36:37], -v[64:65]
	v_add_f64 v[56:57], v[54:55], v[36:37]
	v_fma_f64 v[46:47], v[46:47], -0.5, v[54:55]
	v_add_f64 v[54:55], v[34:35], -v[38:39]
	v_fma_f64 v[50:51], v[50:51], -0.5, v[40:41]
	v_add_f64 v[58:59], v[6:7], -v[4:5]
	;; [unrolled: 2-line block ×3, first 2 shown]
	v_fma_f64 v[36:37], v[52:53], s[2:3], v[44:45]
	v_fma_f64 v[52:53], v[52:53], s[4:5], v[44:45]
	v_add_f64 v[34:35], v[56:57], v[64:65]
	v_fma_f64 v[38:39], v[54:55], s[4:5], v[46:47]
	v_fma_f64 v[54:55], v[54:55], s[2:3], v[46:47]
	v_fma_f64 v[44:45], v[58:59], s[2:3], v[50:51]
	v_fma_f64 v[48:49], v[58:59], s[4:5], v[50:51]
	v_fma_f64 v[46:47], v[62:63], s[4:5], v[60:61]
	v_fma_f64 v[50:51], v[62:63], s[2:3], v[60:61]
	ds_write_b128 v88, v[8:11]
	ds_write_b128 v88, v[12:15] offset:416
	ds_write_b128 v88, v[16:19] offset:832
	ds_write_b128 v89, v[20:23]
	ds_write_b128 v89, v[24:27] offset:416
	ds_write_b128 v89, v[28:31] offset:832
	;; [unrolled: 3-line block ×3, first 2 shown]
	s_and_saveexec_b64 s[2:3], s[0:1]
	s_cbranch_execz .LBB0_21
; %bb.20:
	v_add_f64 v[0:1], v[40:41], v[0:1]
	v_add_f64 v[6:7], v[42:43], v[6:7]
	s_movk_i32 s4, 0x4e
	v_add_f64 v[2:3], v[0:1], v[2:3]
	buffer_load_dword v0, off, s[52:55], 0 offset:244 ; 4-byte Folded Reload
	v_add_f64 v[4:5], v[6:7], v[4:5]
	s_waitcnt vmcnt(0)
	v_mad_legacy_u16 v0, v0, s4, v245
	v_lshlrev_b32_e32 v0, 4, v0
	ds_write_b128 v0, v[44:47] offset:416
	ds_write_b128 v0, v[2:5]
	ds_write_b128 v0, v[48:51] offset:832
.LBB0_21:
	s_or_b64 exec, exec, s[2:3]
	s_waitcnt lgkmcnt(0)
	s_barrier
	ds_read_b128 v[0:3], v255
	ds_read_b128 v[4:7], v255 offset:1872
	ds_read_b128 v[8:11], v255 offset:3744
	;; [unrolled: 1-line block ×7, first 2 shown]
	s_waitcnt lgkmcnt(5)
	v_mul_f64 v[40:41], v[134:135], v[10:11]
	v_mul_f64 v[42:43], v[134:135], v[8:9]
	s_waitcnt lgkmcnt(3)
	v_mul_f64 v[52:53], v[130:131], v[18:19]
	s_waitcnt lgkmcnt(1)
	v_mul_f64 v[56:57], v[126:127], v[26:27]
	ds_read_b128 v[32:35], v255 offset:14976
	ds_read_b128 v[36:39], v255 offset:16848
	v_mul_f64 v[54:55], v[130:131], v[16:17]
	v_mul_f64 v[58:59], v[126:127], v[24:25]
	s_mov_b32 s2, 0x134454ff
	v_fma_f64 v[40:41], v[132:133], v[8:9], v[40:41]
	s_waitcnt lgkmcnt(1)
	v_mul_f64 v[8:9], v[122:123], v[34:35]
	v_mul_f64 v[60:61], v[122:123], v[32:33]
	v_fma_f64 v[42:43], v[132:133], v[10:11], -v[42:43]
	v_fma_f64 v[10:11], v[128:129], v[16:17], v[52:53]
	v_fma_f64 v[16:17], v[124:125], v[24:25], v[56:57]
	v_fma_f64 v[24:25], v[124:125], v[26:27], -v[58:59]
	v_mul_f64 v[26:27], v[150:151], v[14:15]
	v_mul_f64 v[52:53], v[146:147], v[22:23]
	v_fma_f64 v[32:33], v[120:121], v[32:33], v[8:9]
	v_fma_f64 v[34:35], v[120:121], v[34:35], -v[60:61]
	v_mul_f64 v[8:9], v[150:151], v[12:13]
	v_fma_f64 v[18:19], v[128:129], v[18:19], -v[54:55]
	v_add_f64 v[58:59], v[10:11], v[16:17]
	v_add_f64 v[54:55], v[0:1], v[40:41]
	v_mul_f64 v[56:57], v[146:147], v[20:21]
	v_fma_f64 v[26:27], v[148:149], v[12:13], v[26:27]
	v_mul_f64 v[12:13], v[142:143], v[30:31]
	v_fma_f64 v[52:53], v[144:145], v[20:21], v[52:53]
	v_fma_f64 v[62:63], v[148:149], v[14:15], -v[8:9]
	v_add_f64 v[20:21], v[42:43], -v[34:35]
	v_fma_f64 v[14:15], v[58:59], -0.5, v[0:1]
	v_mul_f64 v[60:61], v[142:143], v[28:29]
	s_mov_b32 s3, 0xbfee6f0e
	v_add_f64 v[66:67], v[40:41], v[32:33]
	v_add_f64 v[8:9], v[54:55], v[10:11]
	v_fma_f64 v[54:55], v[144:145], v[22:23], -v[56:57]
	v_fma_f64 v[28:29], v[140:141], v[28:29], v[12:13]
	s_waitcnt lgkmcnt(0)
	v_mul_f64 v[12:13], v[138:139], v[38:39]
	v_fma_f64 v[56:57], v[20:21], s[2:3], v[14:15]
	v_add_f64 v[58:59], v[18:19], -v[24:25]
	s_mov_b32 s12, 0x4755a5e
	v_fma_f64 v[30:31], v[140:141], v[30:31], -v[60:61]
	v_mul_f64 v[22:23], v[138:139], v[36:37]
	v_add_f64 v[60:61], v[40:41], -v[10:11]
	v_add_f64 v[64:65], v[32:33], -v[16:17]
	s_mov_b32 s13, 0xbfe2cf23
	v_fma_f64 v[0:1], v[66:67], -0.5, v[0:1]
	s_mov_b32 s17, 0x3fee6f0e
	s_mov_b32 s16, s2
	v_fma_f64 v[36:37], v[136:137], v[36:37], v[12:13]
	v_fma_f64 v[12:13], v[58:59], s[12:13], v[56:57]
	;; [unrolled: 1-line block ×3, first 2 shown]
	v_add_f64 v[56:57], v[2:3], v[42:43]
	v_add_f64 v[8:9], v[8:9], v[16:17]
	v_fma_f64 v[38:39], v[136:137], v[38:39], -v[22:23]
	v_add_f64 v[22:23], v[60:61], v[64:65]
	s_mov_b32 s15, 0x3fe2cf23
	v_fma_f64 v[64:65], v[58:59], s[16:17], v[0:1]
	v_add_f64 v[66:67], v[10:11], -v[40:41]
	v_add_f64 v[68:69], v[16:17], -v[32:33]
	s_mov_b32 s14, s12
	v_fma_f64 v[14:15], v[58:59], s[14:15], v[14:15]
	v_add_f64 v[56:57], v[56:57], v[18:19]
	s_mov_b32 s4, 0x372fe950
	v_add_f64 v[8:9], v[8:9], v[32:33]
	s_mov_b32 s5, 0x3fd3c6ef
	v_add_f64 v[60:61], v[18:19], v[24:25]
	v_add_f64 v[32:33], v[40:41], -v[32:33]
	v_fma_f64 v[40:41], v[20:21], s[12:13], v[64:65]
	v_add_f64 v[64:65], v[66:67], v[68:69]
	v_fma_f64 v[58:59], v[58:59], s[2:3], v[0:1]
	v_fma_f64 v[0:1], v[22:23], s[4:5], v[12:13]
	;; [unrolled: 1-line block ×3, first 2 shown]
	v_add_f64 v[22:23], v[56:57], v[24:25]
	v_add_f64 v[56:57], v[42:43], v[34:35]
	v_fma_f64 v[60:61], v[60:61], -0.5, v[2:3]
	v_add_f64 v[66:67], v[10:11], -v[16:17]
	v_fma_f64 v[16:17], v[64:65], s[4:5], v[40:41]
	v_add_f64 v[40:41], v[52:53], v[28:29]
	v_fma_f64 v[14:15], v[20:21], s[14:15], v[58:59]
	v_add_f64 v[68:69], v[42:43], -v[18:19]
	v_add_f64 v[70:71], v[34:35], -v[24:25]
	v_fma_f64 v[2:3], v[56:57], -0.5, v[2:3]
	v_fma_f64 v[58:59], v[32:33], s[16:17], v[60:61]
	v_add_f64 v[56:57], v[62:63], -v[38:39]
	v_fma_f64 v[60:61], v[32:33], s[2:3], v[60:61]
	v_fma_f64 v[40:41], v[40:41], -0.5, v[4:5]
	v_fma_f64 v[20:21], v[64:65], s[4:5], v[14:15]
	v_add_f64 v[10:11], v[22:23], v[34:35]
	v_add_f64 v[22:23], v[4:5], v[26:27]
	v_fma_f64 v[64:65], v[66:67], s[2:3], v[2:3]
	v_add_f64 v[18:19], v[18:19], -v[42:43]
	v_add_f64 v[24:25], v[24:25], -v[34:35]
	v_fma_f64 v[2:3], v[66:67], s[16:17], v[2:3]
	v_fma_f64 v[14:15], v[66:67], s[14:15], v[58:59]
	v_add_f64 v[58:59], v[68:69], v[70:71]
	v_fma_f64 v[34:35], v[56:57], s[2:3], v[40:41]
	v_add_f64 v[42:43], v[54:55], -v[30:31]
	v_add_f64 v[68:69], v[26:27], -v[52:53]
	;; [unrolled: 1-line block ×3, first 2 shown]
	v_fma_f64 v[60:61], v[66:67], s[12:13], v[60:61]
	v_add_f64 v[66:67], v[26:27], v[36:37]
	v_add_f64 v[22:23], v[22:23], v[52:53]
	v_fma_f64 v[64:65], v[32:33], s[14:15], v[64:65]
	v_add_f64 v[24:25], v[18:19], v[24:25]
	v_fma_f64 v[32:33], v[32:33], s[12:13], v[2:3]
	v_fma_f64 v[34:35], v[42:43], s[12:13], v[34:35]
	v_add_f64 v[68:69], v[68:69], v[70:71]
	v_fma_f64 v[2:3], v[58:59], s[4:5], v[14:15]
	v_fma_f64 v[66:67], v[66:67], -0.5, v[4:5]
	v_add_f64 v[72:73], v[22:23], v[28:29]
	v_fma_f64 v[14:15], v[58:59], s[4:5], v[60:61]
	v_add_f64 v[60:61], v[62:63], v[38:39]
	v_fma_f64 v[22:23], v[24:25], s[4:5], v[32:33]
	;; [unrolled: 2-line block ×3, first 2 shown]
	v_fma_f64 v[24:25], v[68:69], s[4:5], v[34:35]
	v_fma_f64 v[34:35], v[56:57], s[16:17], v[40:41]
	;; [unrolled: 1-line block ×3, first 2 shown]
	v_add_f64 v[70:71], v[6:7], v[62:63]
	v_add_f64 v[58:59], v[52:53], -v[26:27]
	v_add_f64 v[64:65], v[28:29], -v[36:37]
	v_fma_f64 v[32:33], v[32:33], -0.5, v[6:7]
	v_add_f64 v[26:27], v[26:27], -v[36:37]
	v_add_f64 v[28:29], v[52:53], -v[28:29]
	v_fma_f64 v[6:7], v[60:61], -0.5, v[6:7]
	v_add_f64 v[4:5], v[72:73], v[36:37]
	v_fma_f64 v[34:35], v[42:43], s[14:15], v[34:35]
	v_fma_f64 v[36:37], v[56:57], s[12:13], v[40:41]
	v_fma_f64 v[40:41], v[42:43], s[2:3], v[66:67]
	v_add_f64 v[42:43], v[70:71], v[54:55]
	v_add_f64 v[52:53], v[58:59], v[64:65]
	v_fma_f64 v[58:59], v[26:27], s[16:17], v[32:33]
	v_add_f64 v[60:61], v[62:63], -v[54:55]
	v_add_f64 v[64:65], v[38:39], -v[30:31]
	v_fma_f64 v[66:67], v[28:29], s[2:3], v[6:7]
	v_add_f64 v[54:55], v[54:55], -v[62:63]
	v_add_f64 v[62:63], v[30:31], -v[38:39]
	v_fma_f64 v[32:33], v[26:27], s[2:3], v[32:33]
	v_fma_f64 v[6:7], v[28:29], s[16:17], v[6:7]
	v_add_f64 v[30:31], v[42:43], v[30:31]
	v_fma_f64 v[42:43], v[28:29], s[14:15], v[58:59]
	v_add_f64 v[58:59], v[60:61], v[64:65]
	v_fma_f64 v[64:65], v[26:27], s[14:15], v[66:67]
	v_fma_f64 v[56:57], v[56:57], s[14:15], v[40:41]
	v_add_f64 v[54:55], v[54:55], v[62:63]
	v_fma_f64 v[60:61], v[28:29], s[12:13], v[32:33]
	;; [unrolled: 3-line block ×3, first 2 shown]
	v_fma_f64 v[26:27], v[58:59], s[4:5], v[42:43]
	v_fma_f64 v[40:41], v[68:69], s[4:5], v[34:35]
	v_fma_f64 v[32:33], v[52:53], s[4:5], v[56:57]
	v_fma_f64 v[30:31], v[54:55], s[4:5], v[64:65]
	v_fma_f64 v[42:43], v[58:59], s[4:5], v[60:61]
	v_fma_f64 v[34:35], v[54:55], s[4:5], v[62:63]
	s_barrier
	ds_write_b128 v91, v[8:11]
	ds_write_b128 v91, v[0:3] offset:1248
	ds_write_b128 v91, v[16:19] offset:2496
	;; [unrolled: 1-line block ×4, first 2 shown]
	ds_write_b128 v238, v[4:7]
	ds_write_b128 v238, v[24:27] offset:1248
	ds_write_b128 v238, v[28:31] offset:2496
	ds_write_b128 v238, v[32:35] offset:3744
	ds_write_b128 v238, v[40:43] offset:4992
	s_waitcnt lgkmcnt(0)
	s_barrier
	ds_read_b128 v[60:63], v255
	ds_read_b128 v[56:59], v255 offset:1872
	ds_read_b128 v[80:83], v255 offset:12480
	;; [unrolled: 1-line block ×8, first 2 shown]
	s_and_saveexec_b64 s[2:3], s[0:1]
	s_cbranch_execz .LBB0_23
; %bb.22:
	ds_read_b128 v[40:43], v255 offset:5616
	ds_read_b128 v[44:47], v255 offset:11856
	;; [unrolled: 1-line block ×3, first 2 shown]
.LBB0_23:
	s_or_b64 exec, exec, s[2:3]
	s_waitcnt lgkmcnt(4)
	v_mul_f64 v[0:1], v[158:159], v[86:87]
	v_mul_f64 v[2:3], v[162:163], v[82:83]
	v_mul_f64 v[4:5], v[158:159], v[84:85]
	v_mul_f64 v[6:7], v[162:163], v[80:81]
	s_waitcnt lgkmcnt(2)
	v_mul_f64 v[8:9], v[174:175], v[78:79]
	v_mul_f64 v[12:13], v[178:179], v[70:71]
	;; [unrolled: 1-line block ×3, first 2 shown]
	s_waitcnt lgkmcnt(1)
	v_mul_f64 v[16:17], v[186:187], v[74:75]
	v_fma_f64 v[14:15], v[156:157], v[84:85], v[0:1]
	v_fma_f64 v[2:3], v[160:161], v[80:81], v[2:3]
	v_fma_f64 v[24:25], v[156:157], v[86:87], -v[4:5]
	v_fma_f64 v[6:7], v[160:161], v[82:83], -v[6:7]
	v_mul_f64 v[0:1], v[178:179], v[68:69]
	v_fma_f64 v[26:27], v[172:173], v[76:77], v[8:9]
	v_fma_f64 v[30:31], v[176:177], v[68:69], v[12:13]
	v_mul_f64 v[18:19], v[186:187], v[72:73]
	s_waitcnt lgkmcnt(0)
	v_mul_f64 v[20:21], v[182:183], v[66:67]
	v_mul_f64 v[22:23], v[182:183], v[64:65]
	v_add_f64 v[4:5], v[14:15], v[2:3]
	v_add_f64 v[12:13], v[24:25], v[6:7]
	v_fma_f64 v[28:29], v[172:173], v[78:79], -v[10:11]
	v_fma_f64 v[32:33], v[176:177], v[70:71], -v[0:1]
	v_fma_f64 v[34:35], v[184:185], v[72:73], v[16:17]
	v_add_f64 v[16:17], v[26:27], v[30:31]
	v_add_f64 v[0:1], v[60:61], v[14:15]
	v_fma_f64 v[18:19], v[184:185], v[74:75], -v[18:19]
	v_fma_f64 v[8:9], v[4:5], -0.5, v[60:61]
	v_add_f64 v[10:11], v[24:25], -v[6:7]
	v_fma_f64 v[36:37], v[180:181], v[64:65], v[20:21]
	v_fma_f64 v[38:39], v[180:181], v[66:67], -v[22:23]
	v_add_f64 v[20:21], v[62:63], v[24:25]
	v_fma_f64 v[12:13], v[12:13], -0.5, v[62:63]
	v_add_f64 v[14:15], v[14:15], -v[2:3]
	v_add_f64 v[22:23], v[56:57], v[26:27]
	v_fma_f64 v[24:25], v[16:17], -0.5, v[56:57]
	v_add_f64 v[56:57], v[28:29], -v[32:33]
	v_add_f64 v[60:61], v[28:29], v[32:33]
	s_mov_b32 s2, 0xe8584caa
	s_mov_b32 s3, 0xbfebb67a
	;; [unrolled: 1-line block ×4, first 2 shown]
	v_add_f64 v[0:1], v[0:1], v[2:3]
	v_fma_f64 v[4:5], v[10:11], s[2:3], v[8:9]
	v_fma_f64 v[8:9], v[10:11], s[4:5], v[8:9]
	v_add_f64 v[2:3], v[20:21], v[6:7]
	v_fma_f64 v[6:7], v[14:15], s[4:5], v[12:13]
	v_fma_f64 v[10:11], v[14:15], s[2:3], v[12:13]
	v_add_f64 v[12:13], v[22:23], v[30:31]
	v_add_f64 v[14:15], v[34:35], v[36:37]
	v_add_f64 v[22:23], v[18:19], v[38:39]
	v_fma_f64 v[16:17], v[56:57], s[2:3], v[24:25]
	v_fma_f64 v[20:21], v[56:57], s[4:5], v[24:25]
	v_add_f64 v[24:25], v[58:59], v[28:29]
	v_fma_f64 v[28:29], v[60:61], -0.5, v[58:59]
	v_add_f64 v[26:27], v[26:27], -v[30:31]
	v_add_f64 v[30:31], v[52:53], v[34:35]
	v_add_f64 v[58:59], v[54:55], v[18:19]
	v_fma_f64 v[52:53], v[14:15], -0.5, v[52:53]
	v_add_f64 v[56:57], v[18:19], -v[38:39]
	v_fma_f64 v[54:55], v[22:23], -0.5, v[54:55]
	v_add_f64 v[34:35], v[34:35], -v[36:37]
	v_add_f64 v[14:15], v[24:25], v[32:33]
	v_fma_f64 v[18:19], v[26:27], s[4:5], v[28:29]
	v_fma_f64 v[22:23], v[26:27], s[2:3], v[28:29]
	v_add_f64 v[24:25], v[30:31], v[36:37]
	v_add_f64 v[26:27], v[58:59], v[38:39]
	v_fma_f64 v[28:29], v[56:57], s[2:3], v[52:53]
	v_fma_f64 v[32:33], v[56:57], s[4:5], v[52:53]
	v_fma_f64 v[30:31], v[34:35], s[4:5], v[54:55]
	v_fma_f64 v[34:35], v[34:35], s[2:3], v[54:55]
	ds_write_b128 v255, v[0:3]
	ds_write_b128 v255, v[4:7] offset:6240
	ds_write_b128 v255, v[8:11] offset:12480
	;; [unrolled: 1-line block ×8, first 2 shown]
	s_and_saveexec_b64 s[12:13], s[0:1]
	s_cbranch_execz .LBB0_25
; %bb.24:
	v_mul_f64 v[0:1], v[166:167], v[44:45]
	v_mul_f64 v[2:3], v[170:171], v[48:49]
	;; [unrolled: 1-line block ×4, first 2 shown]
	v_fma_f64 v[0:1], v[164:165], v[46:47], -v[0:1]
	v_fma_f64 v[2:3], v[168:169], v[50:51], -v[2:3]
	v_fma_f64 v[4:5], v[164:165], v[44:45], v[4:5]
	v_fma_f64 v[6:7], v[168:169], v[48:49], v[6:7]
	v_add_f64 v[14:15], v[42:43], v[0:1]
	v_add_f64 v[8:9], v[0:1], v[2:3]
	v_add_f64 v[16:17], v[0:1], -v[2:3]
	v_add_f64 v[10:11], v[4:5], v[6:7]
	v_add_f64 v[12:13], v[4:5], -v[6:7]
	v_add_f64 v[4:5], v[40:41], v[4:5]
	v_add_f64 v[2:3], v[14:15], v[2:3]
	v_fma_f64 v[8:9], v[8:9], -0.5, v[42:43]
	v_fma_f64 v[18:19], v[10:11], -0.5, v[40:41]
	v_add_f64 v[0:1], v[4:5], v[6:7]
	v_fma_f64 v[6:7], v[12:13], s[2:3], v[8:9]
	v_fma_f64 v[10:11], v[12:13], s[4:5], v[8:9]
	v_fma_f64 v[8:9], v[16:17], s[2:3], v[18:19]
	v_fma_f64 v[4:5], v[16:17], s[4:5], v[18:19]
	ds_write_b128 v255, v[0:3] offset:5616
	ds_write_b128 v255, v[8:11] offset:11856
	;; [unrolled: 1-line block ×3, first 2 shown]
.LBB0_25:
	s_or_b64 exec, exec, s[12:13]
	buffer_load_dword v0, off, s[52:55], 0 offset:60 ; 4-byte Folded Reload
	buffer_load_dword v1, off, s[52:55], 0 offset:64 ; 4-byte Folded Reload
	s_waitcnt vmcnt(0) lgkmcnt(0)
	s_barrier
	v_mad_u64_u32 v[18:19], s[0:1], s8, v241, 0
	v_mov_b32_e32 v24, s7
	s_mul_hi_u32 s5, s8, 0xffffe2c0
	s_mul_i32 s4, s9, 0xffffe2c0
	s_sub_i32 s5, s5, s8
	s_add_i32 s4, s5, s4
	s_mul_i32 s5, s8, 0xffffe2c0
	v_mov_b32_e32 v30, s4
	ds_read_b128 v[4:7], v255 offset:1872
	v_mov_b32_e32 v11, v0
	ds_read_b128 v[0:3], v255
	buffer_load_dword v20, off, s[52:55], 0 offset:180 ; 4-byte Folded Reload
	buffer_load_dword v21, off, s[52:55], 0 offset:184 ; 4-byte Folded Reload
	;; [unrolled: 1-line block ×4, first 2 shown]
	v_mad_u64_u32 v[16:17], s[0:1], s10, v11, 0
	v_mov_b32_e32 v8, v17
	s_waitcnt vmcnt(0) lgkmcnt(0)
	v_mul_f64 v[9:10], v[22:23], v[2:3]
	v_mad_u64_u32 v[11:12], s[0:1], s11, v11, v[8:9]
	v_mul_f64 v[12:13], v[22:23], v[0:1]
	v_fma_f64 v[8:9], v[20:21], v[0:1], v[9:10]
	v_mov_b32_e32 v0, v19
	v_mov_b32_e32 v17, v11
	s_mov_b32 s0, 0x1c01c01c
	s_mov_b32 s1, 0x3f4c01c0
	v_lshlrev_b64 v[16:17], 4, v[16:17]
	v_fma_f64 v[10:11], v[20:21], v[2:3], -v[12:13]
	v_mad_u64_u32 v[12:13], s[2:3], s9, v241, v[0:1]
	ds_read_b128 v[0:3], v255 offset:9360
	v_mul_f64 v[8:9], v[8:9], s[0:1]
	v_mov_b32_e32 v19, v12
	ds_read_b128 v[12:15], v255 offset:7488
	buffer_load_dword v26, off, s[52:55], 0 offset:68 ; 4-byte Folded Reload
	buffer_load_dword v27, off, s[52:55], 0 offset:72 ; 4-byte Folded Reload
	buffer_load_dword v28, off, s[52:55], 0 offset:76 ; 4-byte Folded Reload
	buffer_load_dword v29, off, s[52:55], 0 offset:80 ; 4-byte Folded Reload
	v_mul_f64 v[10:11], v[10:11], s[0:1]
	v_add_co_u32_e32 v25, vcc, s6, v16
	v_addc_co_u32_e32 v24, vcc, v24, v17, vcc
	v_lshlrev_b64 v[16:17], 4, v[18:19]
	s_mul_i32 s2, s9, 0x2490
	v_add_co_u32_e32 v16, vcc, v25, v16
	v_addc_co_u32_e32 v17, vcc, v24, v17, vcc
	global_store_dwordx4 v[16:17], v[8:11], off
	s_mul_hi_u32 s3, s8, 0x2490
	s_add_i32 s2, s3, s2
	s_mul_i32 s3, s8, 0x2490
	v_mov_b32_e32 v18, s2
	s_waitcnt vmcnt(1) lgkmcnt(1)
	v_mul_f64 v[20:21], v[28:29], v[2:3]
	v_mul_f64 v[22:23], v[28:29], v[0:1]
	v_fma_f64 v[0:1], v[26:27], v[0:1], v[20:21]
	v_fma_f64 v[2:3], v[26:27], v[2:3], -v[22:23]
	buffer_load_dword v19, off, s[52:55], 0 offset:28 ; 4-byte Folded Reload
	buffer_load_dword v20, off, s[52:55], 0 offset:32 ; 4-byte Folded Reload
	;; [unrolled: 1-line block ×4, first 2 shown]
	v_mul_f64 v[0:1], v[0:1], s[0:1]
	v_mul_f64 v[2:3], v[2:3], s[0:1]
	s_waitcnt vmcnt(0)
	v_mul_f64 v[8:9], v[21:22], v[6:7]
	v_mul_f64 v[10:11], v[21:22], v[4:5]
	v_fma_f64 v[4:5], v[19:20], v[4:5], v[8:9]
	v_fma_f64 v[6:7], v[19:20], v[6:7], -v[10:11]
	v_add_co_u32_e32 v20, vcc, s3, v16
	v_addc_co_u32_e32 v21, vcc, v17, v18, vcc
	global_store_dwordx4 v[20:21], v[0:3], off
	ds_read_b128 v[0:3], v255 offset:11232
	ds_read_b128 v[8:11], v255 offset:13104
	buffer_load_dword v26, off, s[52:55], 0 offset:44 ; 4-byte Folded Reload
	buffer_load_dword v27, off, s[52:55], 0 offset:48 ; 4-byte Folded Reload
	;; [unrolled: 1-line block ×4, first 2 shown]
	ds_read_b128 v[16:19], v255 offset:3744
	v_mul_f64 v[4:5], v[4:5], s[0:1]
	v_mul_f64 v[6:7], v[6:7], s[0:1]
	v_add_co_u32_e32 v20, vcc, s5, v20
	v_addc_co_u32_e32 v21, vcc, v21, v30, vcc
	v_mov_b32_e32 v30, s2
	s_waitcnt vmcnt(0) lgkmcnt(2)
	v_mul_f64 v[22:23], v[28:29], v[2:3]
	v_mul_f64 v[24:25], v[28:29], v[0:1]
	v_fma_f64 v[22:23], v[26:27], v[0:1], v[22:23]
	v_fma_f64 v[24:25], v[26:27], v[2:3], -v[24:25]
	ds_read_b128 v[0:3], v255 offset:5616
	buffer_load_dword v31, off, s[52:55], 0 offset:84 ; 4-byte Folded Reload
	buffer_load_dword v32, off, s[52:55], 0 offset:88 ; 4-byte Folded Reload
	;; [unrolled: 1-line block ×4, first 2 shown]
	s_waitcnt vmcnt(0) lgkmcnt(1)
	v_mul_f64 v[26:27], v[33:34], v[18:19]
	v_mul_f64 v[28:29], v[33:34], v[16:17]
	global_store_dwordx4 v[20:21], v[4:7], off
	v_add_co_u32_e32 v20, vcc, s3, v20
	v_mul_f64 v[4:5], v[22:23], s[0:1]
	v_mul_f64 v[6:7], v[24:25], s[0:1]
	v_addc_co_u32_e32 v21, vcc, v21, v30, vcc
	v_fma_f64 v[16:17], v[31:32], v[16:17], v[26:27]
	v_fma_f64 v[18:19], v[31:32], v[18:19], -v[28:29]
	buffer_load_dword v31, off, s[52:55], 0 offset:132 ; 4-byte Folded Reload
	buffer_load_dword v32, off, s[52:55], 0 offset:136 ; 4-byte Folded Reload
	;; [unrolled: 1-line block ×4, first 2 shown]
	v_mov_b32_e32 v26, s4
	global_store_dwordx4 v[20:21], v[4:7], off
	v_add_co_u32_e32 v20, vcc, s5, v20
	v_mul_f64 v[4:5], v[16:17], s[0:1]
	v_mul_f64 v[6:7], v[18:19], s[0:1]
	v_addc_co_u32_e32 v21, vcc, v21, v26, vcc
	v_mov_b32_e32 v26, s2
	s_waitcnt vmcnt(1)
	v_mul_f64 v[22:23], v[33:34], v[10:11]
	v_mul_f64 v[24:25], v[33:34], v[8:9]
	v_fma_f64 v[8:9], v[31:32], v[8:9], v[22:23]
	v_fma_f64 v[10:11], v[31:32], v[10:11], -v[24:25]
	buffer_load_dword v22, off, s[52:55], 0 offset:164 ; 4-byte Folded Reload
	buffer_load_dword v23, off, s[52:55], 0 offset:168 ; 4-byte Folded Reload
	;; [unrolled: 1-line block ×4, first 2 shown]
	s_waitcnt vmcnt(0) lgkmcnt(0)
	v_mul_f64 v[16:17], v[24:25], v[2:3]
	v_mul_f64 v[18:19], v[24:25], v[0:1]
	global_store_dwordx4 v[20:21], v[4:7], off
	v_add_co_u32_e32 v20, vcc, s3, v20
	v_mul_f64 v[4:5], v[8:9], s[0:1]
	v_mul_f64 v[6:7], v[10:11], s[0:1]
	ds_read_b128 v[8:11], v255 offset:14976
	v_fma_f64 v[16:17], v[22:23], v[0:1], v[16:17]
	v_fma_f64 v[18:19], v[22:23], v[2:3], -v[18:19]
	ds_read_b128 v[0:3], v255 offset:16848
	buffer_load_dword v27, off, s[52:55], 0 offset:100 ; 4-byte Folded Reload
	buffer_load_dword v28, off, s[52:55], 0 offset:104 ; 4-byte Folded Reload
	;; [unrolled: 1-line block ×4, first 2 shown]
	v_addc_co_u32_e32 v21, vcc, v21, v26, vcc
	global_store_dwordx4 v[20:21], v[4:7], off
	s_waitcnt vmcnt(1) lgkmcnt(1)
	v_mul_f64 v[22:23], v[29:30], v[10:11]
	v_mul_f64 v[24:25], v[29:30], v[8:9]
	;; [unrolled: 1-line block ×3, first 2 shown]
	v_mov_b32_e32 v17, s4
	v_add_co_u32_e32 v16, vcc, s5, v20
	v_mul_f64 v[6:7], v[18:19], s[0:1]
	v_addc_co_u32_e32 v17, vcc, v21, v17, vcc
	v_fma_f64 v[8:9], v[27:28], v[8:9], v[22:23]
	v_fma_f64 v[10:11], v[27:28], v[10:11], -v[24:25]
	buffer_load_dword v27, off, s[52:55], 0 offset:116 ; 4-byte Folded Reload
	buffer_load_dword v28, off, s[52:55], 0 offset:120 ; 4-byte Folded Reload
	;; [unrolled: 1-line block ×4, first 2 shown]
	s_waitcnt vmcnt(0)
	v_mul_f64 v[18:19], v[29:30], v[14:15]
	v_mul_f64 v[20:21], v[29:30], v[12:13]
	buffer_load_dword v29, off, s[52:55], 0 offset:148 ; 4-byte Folded Reload
	buffer_load_dword v30, off, s[52:55], 0 offset:152 ; 4-byte Folded Reload
	;; [unrolled: 1-line block ×4, first 2 shown]
	s_waitcnt vmcnt(0) lgkmcnt(0)
	v_mul_f64 v[22:23], v[31:32], v[2:3]
	v_mul_f64 v[24:25], v[31:32], v[0:1]
	global_store_dwordx4 v[16:17], v[4:7], off
	v_add_co_u32_e32 v16, vcc, s3, v16
	v_mul_f64 v[4:5], v[8:9], s[0:1]
	v_mul_f64 v[6:7], v[10:11], s[0:1]
	v_fma_f64 v[8:9], v[27:28], v[12:13], v[18:19]
	v_fma_f64 v[10:11], v[27:28], v[14:15], -v[20:21]
	v_fma_f64 v[12:13], v[29:30], v[0:1], v[22:23]
	v_fma_f64 v[14:15], v[29:30], v[2:3], -v[24:25]
	v_addc_co_u32_e32 v17, vcc, v17, v26, vcc
	global_store_dwordx4 v[16:17], v[4:7], off
	v_mul_f64 v[0:1], v[8:9], s[0:1]
	v_mul_f64 v[2:3], v[10:11], s[0:1]
	v_mul_f64 v[4:5], v[12:13], s[0:1]
	v_mul_f64 v[6:7], v[14:15], s[0:1]
	v_mov_b32_e32 v9, s4
	v_add_co_u32_e32 v8, vcc, s5, v16
	v_addc_co_u32_e32 v9, vcc, v17, v9, vcc
	global_store_dwordx4 v[8:9], v[0:3], off
	s_nop 0
	v_mov_b32_e32 v1, s2
	v_add_co_u32_e32 v0, vcc, s3, v8
	v_addc_co_u32_e32 v1, vcc, v9, v1, vcc
	global_store_dwordx4 v[0:1], v[4:7], off
.LBB0_26:
	s_endpgm
	.section	.rodata,"a",@progbits
	.p2align	6, 0x0
	.amdhsa_kernel bluestein_single_fwd_len1170_dim1_dp_op_CI_CI
		.amdhsa_group_segment_fixed_size 18720
		.amdhsa_private_segment_fixed_size 608
		.amdhsa_kernarg_size 104
		.amdhsa_user_sgpr_count 6
		.amdhsa_user_sgpr_private_segment_buffer 1
		.amdhsa_user_sgpr_dispatch_ptr 0
		.amdhsa_user_sgpr_queue_ptr 0
		.amdhsa_user_sgpr_kernarg_segment_ptr 1
		.amdhsa_user_sgpr_dispatch_id 0
		.amdhsa_user_sgpr_flat_scratch_init 0
		.amdhsa_user_sgpr_private_segment_size 0
		.amdhsa_uses_dynamic_stack 0
		.amdhsa_system_sgpr_private_segment_wavefront_offset 1
		.amdhsa_system_sgpr_workgroup_id_x 1
		.amdhsa_system_sgpr_workgroup_id_y 0
		.amdhsa_system_sgpr_workgroup_id_z 0
		.amdhsa_system_sgpr_workgroup_info 0
		.amdhsa_system_vgpr_workitem_id 0
		.amdhsa_next_free_vgpr 256
		.amdhsa_next_free_sgpr 56
		.amdhsa_reserve_vcc 1
		.amdhsa_reserve_flat_scratch 0
		.amdhsa_float_round_mode_32 0
		.amdhsa_float_round_mode_16_64 0
		.amdhsa_float_denorm_mode_32 3
		.amdhsa_float_denorm_mode_16_64 3
		.amdhsa_dx10_clamp 1
		.amdhsa_ieee_mode 1
		.amdhsa_fp16_overflow 0
		.amdhsa_exception_fp_ieee_invalid_op 0
		.amdhsa_exception_fp_denorm_src 0
		.amdhsa_exception_fp_ieee_div_zero 0
		.amdhsa_exception_fp_ieee_overflow 0
		.amdhsa_exception_fp_ieee_underflow 0
		.amdhsa_exception_fp_ieee_inexact 0
		.amdhsa_exception_int_div_zero 0
	.end_amdhsa_kernel
	.text
.Lfunc_end0:
	.size	bluestein_single_fwd_len1170_dim1_dp_op_CI_CI, .Lfunc_end0-bluestein_single_fwd_len1170_dim1_dp_op_CI_CI
                                        ; -- End function
	.section	.AMDGPU.csdata,"",@progbits
; Kernel info:
; codeLenInByte = 24276
; NumSgprs: 60
; NumVgprs: 256
; ScratchSize: 608
; MemoryBound: 0
; FloatMode: 240
; IeeeMode: 1
; LDSByteSize: 18720 bytes/workgroup (compile time only)
; SGPRBlocks: 7
; VGPRBlocks: 63
; NumSGPRsForWavesPerEU: 60
; NumVGPRsForWavesPerEU: 256
; Occupancy: 1
; WaveLimiterHint : 1
; COMPUTE_PGM_RSRC2:SCRATCH_EN: 1
; COMPUTE_PGM_RSRC2:USER_SGPR: 6
; COMPUTE_PGM_RSRC2:TRAP_HANDLER: 0
; COMPUTE_PGM_RSRC2:TGID_X_EN: 1
; COMPUTE_PGM_RSRC2:TGID_Y_EN: 0
; COMPUTE_PGM_RSRC2:TGID_Z_EN: 0
; COMPUTE_PGM_RSRC2:TIDIG_COMP_CNT: 0
	.type	__hip_cuid_f92003057da6b929,@object ; @__hip_cuid_f92003057da6b929
	.section	.bss,"aw",@nobits
	.globl	__hip_cuid_f92003057da6b929
__hip_cuid_f92003057da6b929:
	.byte	0                               ; 0x0
	.size	__hip_cuid_f92003057da6b929, 1

	.ident	"AMD clang version 19.0.0git (https://github.com/RadeonOpenCompute/llvm-project roc-6.4.0 25133 c7fe45cf4b819c5991fe208aaa96edf142730f1d)"
	.section	".note.GNU-stack","",@progbits
	.addrsig
	.addrsig_sym __hip_cuid_f92003057da6b929
	.amdgpu_metadata
---
amdhsa.kernels:
  - .args:
      - .actual_access:  read_only
        .address_space:  global
        .offset:         0
        .size:           8
        .value_kind:     global_buffer
      - .actual_access:  read_only
        .address_space:  global
        .offset:         8
        .size:           8
        .value_kind:     global_buffer
      - .actual_access:  read_only
        .address_space:  global
        .offset:         16
        .size:           8
        .value_kind:     global_buffer
      - .actual_access:  read_only
        .address_space:  global
        .offset:         24
        .size:           8
        .value_kind:     global_buffer
      - .actual_access:  read_only
        .address_space:  global
        .offset:         32
        .size:           8
        .value_kind:     global_buffer
      - .offset:         40
        .size:           8
        .value_kind:     by_value
      - .address_space:  global
        .offset:         48
        .size:           8
        .value_kind:     global_buffer
      - .address_space:  global
        .offset:         56
        .size:           8
        .value_kind:     global_buffer
      - .address_space:  global
        .offset:         64
        .size:           8
        .value_kind:     global_buffer
      - .address_space:  global
        .offset:         72
        .size:           8
        .value_kind:     global_buffer
      - .offset:         80
        .size:           4
        .value_kind:     by_value
      - .address_space:  global
        .offset:         88
        .size:           8
        .value_kind:     global_buffer
      - .address_space:  global
        .offset:         96
        .size:           8
        .value_kind:     global_buffer
    .group_segment_fixed_size: 18720
    .kernarg_segment_align: 8
    .kernarg_segment_size: 104
    .language:       OpenCL C
    .language_version:
      - 2
      - 0
    .max_flat_workgroup_size: 117
    .name:           bluestein_single_fwd_len1170_dim1_dp_op_CI_CI
    .private_segment_fixed_size: 608
    .sgpr_count:     60
    .sgpr_spill_count: 0
    .symbol:         bluestein_single_fwd_len1170_dim1_dp_op_CI_CI.kd
    .uniform_work_group_size: 1
    .uses_dynamic_stack: false
    .vgpr_count:     256
    .vgpr_spill_count: 206
    .wavefront_size: 64
amdhsa.target:   amdgcn-amd-amdhsa--gfx906
amdhsa.version:
  - 1
  - 2
...

	.end_amdgpu_metadata
